;; amdgpu-corpus repo=ROCm/rocFFT kind=compiled arch=gfx1100 opt=O3
	.text
	.amdgcn_target "amdgcn-amd-amdhsa--gfx1100"
	.amdhsa_code_object_version 6
	.protected	fft_rtc_fwd_len289_factors_17_17_wgs_119_tpt_17_dp_op_CI_CI_sbrc_erc_z_xy_aligned_dirReg ; -- Begin function fft_rtc_fwd_len289_factors_17_17_wgs_119_tpt_17_dp_op_CI_CI_sbrc_erc_z_xy_aligned_dirReg
	.globl	fft_rtc_fwd_len289_factors_17_17_wgs_119_tpt_17_dp_op_CI_CI_sbrc_erc_z_xy_aligned_dirReg
	.p2align	8
	.type	fft_rtc_fwd_len289_factors_17_17_wgs_119_tpt_17_dp_op_CI_CI_sbrc_erc_z_xy_aligned_dirReg,@function
fft_rtc_fwd_len289_factors_17_17_wgs_119_tpt_17_dp_op_CI_CI_sbrc_erc_z_xy_aligned_dirReg: ; @fft_rtc_fwd_len289_factors_17_17_wgs_119_tpt_17_dp_op_CI_CI_sbrc_erc_z_xy_aligned_dirReg
; %bb.0:
	s_load_b256 s[4:11], s[0:1], 0x0
	v_mov_b32_e32 v150, v0
	s_mov_b32 s44, 0x2a9d6da3
	s_mov_b32 s36, 0x4363dd80
	;; [unrolled: 1-line block ×18, first 2 shown]
	s_waitcnt lgkmcnt(0)
	s_load_b128 s[16:19], s[8:9], 0x8
	s_load_b128 s[20:23], s[10:11], 0x0
	s_mov_b32 s41, 0xbfc7851a
	s_mov_b32 s29, 0x3fedd6d0
	;; [unrolled: 1-line block ×18, first 2 shown]
	s_waitcnt lgkmcnt(0)
	s_add_i32 s2, s16, -1
	v_mov_b32_e32 v127, 0
	s_mul_hi_u32 s3, s2, 0x24924925
	s_delay_alu instid0(SALU_CYCLE_1) | instskip(NEXT) | instid1(SALU_CYCLE_1)
	s_sub_i32 s2, s2, s3
	s_lshr_b32 s2, s2, 1
	s_delay_alu instid0(SALU_CYCLE_1) | instskip(NEXT) | instid1(SALU_CYCLE_1)
	s_add_i32 s2, s2, s3
	s_lshr_b32 s2, s2, 2
	s_delay_alu instid0(SALU_CYCLE_1) | instskip(NEXT) | instid1(SALU_CYCLE_1)
	s_add_i32 s24, s2, 1
	s_mul_i32 s3, s24, s18
	v_cvt_f32_u32_e32 v1, s24
	v_cvt_f32_u32_e32 v0, s3
	s_sub_i32 s9, 0, s3
	s_delay_alu instid0(VALU_DEP_1) | instskip(SKIP_2) | instid1(VALU_DEP_1)
	v_rcp_iflag_f32_e32 v0, v0
	s_waitcnt_depctr 0xfff
	v_mul_f32_e32 v0, 0x4f7ffffe, v0
	v_cvt_u32_f32_e32 v0, v0
	s_delay_alu instid0(VALU_DEP_1) | instskip(SKIP_1) | instid1(VALU_DEP_1)
	v_readfirstlane_b32 s8, v0
	v_rcp_iflag_f32_e32 v0, v1
	s_mul_i32 s9, s9, s8
	s_delay_alu instid0(SALU_CYCLE_1) | instskip(NEXT) | instid1(SALU_CYCLE_1)
	s_mul_hi_u32 s9, s8, s9
	s_add_i32 s8, s8, s9
	s_waitcnt_depctr 0xfff
	v_mul_f32_e32 v0, 0x4f7ffffe, v0
	s_mul_hi_u32 s8, s15, s8
	s_delay_alu instid0(SALU_CYCLE_1)
	s_mul_i32 s9, s8, s3
	s_add_i32 s12, s8, 1
	s_sub_i32 s9, s15, s9
	v_cvt_u32_f32_e32 v0, v0
	s_sub_i32 s13, s9, s3
	s_cmp_ge_u32 s9, s3
	s_cselect_b32 s8, s12, s8
	s_cselect_b32 s9, s13, s9
	s_add_i32 s12, s8, 1
	s_cmp_ge_u32 s9, s3
	v_readfirstlane_b32 s13, v0
	s_cselect_b32 s33, s12, s8
	s_load_b32 s12, s[10:11], 0x10
	v_mad_u64_u32 v[0:1], null, s20, v150, 0
	s_load_b64 s[8:9], s[0:1], 0x20
	s_not_b32 s2, s2
	s_mul_i32 s3, s33, s3
	s_mul_i32 s2, s2, s13
	s_sub_i32 s14, s15, s3
	s_mul_hi_u32 s2, s13, s2
	s_delay_alu instid0(VALU_DEP_1)
	v_mad_u64_u32 v[2:3], null, s21, v150, v[1:2]
	s_add_i32 s13, s13, s2
	s_load_b128 s[0:3], s[0:1], 0x58
	s_mul_hi_u32 s16, s14, s13
	s_mul_hi_u32 s13, s15, s13
	s_mul_i32 s17, s16, s24
	s_mul_i32 s13, s13, s24
	s_delay_alu instid0(VALU_DEP_1)
	v_mov_b32_e32 v1, v2
	v_add_nc_u16 v12, v150, 0x165
	s_sub_i32 s14, s14, s17
	v_add_nc_u16 v14, v150, 0x1dc
	s_add_i32 s17, s16, 1
	s_sub_i32 s18, s14, s24
	v_and_b32_e32 v13, 0xffff, v12
	s_cmp_ge_u32 s14, s24
	v_and_b32_e32 v16, 0xffff, v14
	s_cselect_b32 s23, s17, s16
	s_cselect_b32 s14, s18, s14
	s_waitcnt lgkmcnt(0)
	s_clause 0x1
	s_load_b128 s[16:19], s[8:9], 0x0
	s_load_b32 s64, s[8:9], 0x10
	v_mul_u32_u24_e32 v13, 0xe3, v13
	s_waitcnt lgkmcnt(0)
	s_add_i32 s19, s23, 1
	s_cmp_ge_u32 s14, s24
	v_add_nc_u16 v15, v150, 0x253
	v_mul_u32_u24_e32 v16, 0xe3, v16
	v_lshrrev_b32_e32 v30, 16, v13
	s_cselect_b32 s19, s19, s23
	s_sub_i32 s13, s15, s13
	v_and_b32_e32 v13, 0xffff, v15
	s_sub_i32 s14, s13, s24
	s_cmp_ge_u32 s13, s24
	v_mul_lo_u16 v19, 0x121, v30
	v_lshrrev_b32_e32 v31, 16, v16
	s_cselect_b32 s13, s14, s13
	v_add_nc_u16 v21, v150, 0x2ca
	s_sub_i32 s14, s13, s24
	s_cmp_ge_u32 s13, s24
	v_mul_u32_u24_e32 v13, 0xe3, v13
	v_sub_nc_u16 v12, v12, v19
	v_mul_lo_u16 v19, 0x121, v31
	s_cselect_b32 s65, s14, s13
	s_mul_i32 s12, s19, s12
	s_mul_i32 s65, s65, 7
	s_lshl_b64 s[14:15], s[6:7], 3
	s_mul_i32 s6, s65, s22
	s_mul_i32 s7, s17, s65
	s_mul_hi_u32 s13, s16, s65
	v_and_b32_e32 v17, 0xffff, v21
	v_lshrrev_b32_e32 v32, 16, v13
	v_sub_nc_u16 v14, v14, v19
	s_add_i32 s12, s6, s12
	s_add_i32 s7, s13, s7
	s_add_u32 s10, s10, s14
	v_add_nc_u16 v27, v150, 0x42f
	s_addc_u32 s11, s11, s15
	v_mul_u32_u24_e32 v17, 0xe3, v17
	v_and_b32_e32 v33, 0xffff, v12
	v_mul_lo_u16 v19, 0x121, v32
	v_and_b32_e32 v34, 0xffff, v14
	s_load_b64 s[10:11], s[10:11], 0x0
	v_and_b32_e32 v16, 0xffff, v27
	v_mad_u64_u32 v[12:13], null, s20, v33, 0
	v_lshrrev_b32_e32 v35, 16, v17
	v_sub_nc_u16 v17, v15, v19
	v_mad_u64_u32 v[14:15], null, s20, v34, 0
	v_add_nc_u16 v26, v150, 0x3b8
	v_mul_u32_u24_e32 v16, 0x717, v16
	v_add_nc_u16 v6, v150, 0xee
	v_add_nc_u16 v22, v150, 0x341
	v_and_b32_e32 v38, 0xffff, v17
	v_and_b32_e32 v20, 0xffff, v26
	v_lshrrev_b32_e32 v39, 19, v16
	v_mad_u64_u32 v[16:17], null, s21, v33, v[13:14]
	v_dual_mov_b32 v13, v15 :: v_dual_and_b32 v4, 0xffff, v6
	v_and_b32_e32 v18, 0xffff, v22
	v_mul_u32_u24_e32 v20, 0x717, v20
	s_waitcnt lgkmcnt(0)
	s_mul_i32 s6, s11, s33
	s_mul_hi_u32 s11, s10, s33
	v_mul_u32_u24_e32 v2, 0xe3, v4
	s_add_i32 s11, s11, s6
	v_lshrrev_b32_e32 v37, 19, v20
	v_mad_u64_u32 v[19:20], null, s21, v34, v[13:14]
	v_mov_b32_e32 v13, v16
	v_mul_u32_u24_e32 v18, 0xe3, v18
	s_add_u32 s8, s8, s14
	s_addc_u32 s9, s9, s15
	v_lshrrev_b32_e32 v24, 16, v2
	s_load_b64 s[8:9], s[8:9], 0x0
	v_lshrrev_b32_e32 v36, 16, v18
	v_mad_u64_u32 v[17:18], null, s20, v38, 0
	v_mul_lo_u16 v28, 0x121, v35
	v_mul_lo_u16 v7, 0x121, v24
	v_add_nc_u16 v3, v150, 0x77
	s_mul_i32 s10, s10, s33
	s_mov_b32 s13, 0
	v_sub_nc_u16 v16, v21, v28
	v_mov_b32_e32 v15, v18
	v_sub_nc_u16 v6, v6, v7
	v_mul_lo_u16 v18, 0x121, v37
	s_lshl_b64 s[10:11], s[10:11], 4
	v_lshlrev_b64 v[0:1], 4, v[0:1]
	v_mad_u64_u32 v[20:21], null, s21, v38, v[15:16]
	v_and_b32_e32 v25, 0xffff, v6
	v_sub_nc_u16 v26, v26, v18
	v_mul_lo_u32 v126, s22, v24
	s_waitcnt lgkmcnt(0)
	s_mul_i32 s6, s9, s33
	s_mul_hi_u32 s9, s8, s33
	v_mul_lo_u16 v29, 0x121, v36
	v_mov_b32_e32 v18, v20
	v_mad_u64_u32 v[8:9], null, s20, v25, 0
	v_and_b32_e32 v23, 0xffff, v3
	s_add_i32 s9, s9, s6
	s_add_u32 s6, s0, s10
	s_addc_u32 s10, s1, s11
	s_lshl_b64 s[0:1], s[12:13], 4
	v_mad_u64_u32 v[4:5], null, s20, v23, 0
	s_add_u32 s0, s6, s0
	s_addc_u32 s1, s10, s1
	v_add_co_u32 v0, vcc_lo, s0, v0
	v_add_co_ci_u32_e32 v1, vcc_lo, s1, v1, vcc_lo
	s_delay_alu instid0(VALU_DEP_3)
	v_mad_u64_u32 v[6:7], null, s21, v23, v[5:6]
	v_lshlrev_b64 v[12:13], 4, v[12:13]
	global_load_b128 v[0:3], v[0:1], off
	v_sub_nc_u16 v28, v22, v29
	v_lshl_add_u32 v29, v150, 4, 0
	v_mov_b32_e32 v15, v19
	v_and_b32_e32 v43, 0xffff, v16
	v_dual_mov_b32 v5, v6 :: v_dual_mov_b32 v6, v9
	v_lshl_add_u32 v40, v23, 4, 0
	v_mul_u32_u24_e32 v42, 0x1220, v24
	s_delay_alu instid0(VALU_DEP_4) | instskip(NEXT) | instid1(VALU_DEP_4)
	v_mad_u64_u32 v[23:24], null, s20, v43, 0
	v_lshlrev_b64 v[4:5], 4, v[4:5]
	v_mad_u64_u32 v[9:10], null, s21, v25, v[6:7]
	v_lshlrev_b64 v[10:11], 4, v[126:127]
	v_mul_lo_u32 v126, s22, v30
	v_mul_lo_u16 v41, 0x121, v39
	v_add_co_u32 v4, vcc_lo, s0, v4
	v_add_co_ci_u32_e32 v5, vcc_lo, s1, v5, vcc_lo
	v_lshlrev_b64 v[8:9], 4, v[8:9]
	v_and_b32_e32 v44, 0xffff, v26
	v_lshlrev_b64 v[21:22], 4, v[126:127]
	global_load_b128 v[4:7], v[4:5], off
	v_mul_lo_u32 v126, s22, v31
	s_mov_b32 s10, 0x910ea3b9
	v_add_co_u32 v8, vcc_lo, s0, v8
	v_add_co_ci_u32_e32 v9, vcc_lo, s1, v9, vcc_lo
	s_mov_b32 s11, 0xbfeb34fa
	s_delay_alu instid0(VALU_DEP_2) | instskip(NEXT) | instid1(VALU_DEP_2)
	v_add_co_u32 v8, vcc_lo, v8, v10
	v_add_co_ci_u32_e32 v9, vcc_lo, v9, v11, vcc_lo
	v_lshlrev_b64 v[19:20], 4, v[126:127]
	v_mul_lo_u32 v126, s22, v32
	s_mov_b32 s24, 0x2b2883cd
	global_load_b128 v[8:11], v[8:9], off
	s_mov_b32 s14, 0x6ed5f1bb
	s_mov_b32 s25, 0x3fdc86fa
	;; [unrolled: 1-line block ×3, first 2 shown]
	s_mul_i32 s6, s16, s65
	s_mul_i32 s12, s19, s18
	;; [unrolled: 1-line block ×3, first 2 shown]
	s_waitcnt vmcnt(2)
	ds_store_b128 v29, v[0:3]
	v_add_co_u32 v2, vcc_lo, s0, v12
	v_lshlrev_b64 v[0:1], 4, v[14:15]
	v_add_co_ci_u32_e32 v3, vcc_lo, s1, v13, vcc_lo
	s_delay_alu instid0(VALU_DEP_3) | instskip(SKIP_1) | instid1(VALU_DEP_3)
	v_add_co_u32 v2, vcc_lo, v2, v21
	v_lshlrev_b64 v[14:15], 4, v[17:18]
	v_add_co_ci_u32_e32 v3, vcc_lo, v3, v22, vcc_lo
	v_add_co_u32 v12, vcc_lo, s0, v0
	v_add_co_ci_u32_e32 v13, vcc_lo, s1, v1, vcc_lo
	global_load_b128 v[0:3], v[2:3], off
	v_add_co_u32 v12, vcc_lo, v12, v19
	v_add_co_ci_u32_e32 v13, vcc_lo, v13, v20, vcc_lo
	v_lshlrev_b64 v[16:17], 4, v[126:127]
	v_add_co_u32 v18, vcc_lo, s0, v14
	v_sub_nc_u16 v21, v27, v41
	v_dual_mov_b32 v20, v24 :: v_dual_and_b32 v41, 0xffff, v28
	v_add_co_ci_u32_e32 v19, vcc_lo, s1, v15, vcc_lo
	global_load_b128 v[12:15], v[12:13], off
	v_add_co_u32 v16, vcc_lo, v18, v16
	s_waitcnt vmcnt(3)
	ds_store_b128 v40, v[4:7]
	v_mad_u64_u32 v[4:5], null, s20, v41, 0
	v_mad_u64_u32 v[6:7], null, s21, v43, v[20:21]
	v_add_co_ci_u32_e32 v17, vcc_lo, v19, v17, vcc_lo
	v_lshlrev_b32_e32 v7, 4, v25
	v_and_b32_e32 v40, 0xffff, v21
	v_mad_u64_u32 v[20:21], null, s20, v44, 0
	global_load_b128 v[16:19], v[16:17], off
	v_add3_u32 v22, 0, v42, v7
	v_mov_b32_e32 v24, v6
	v_mad_u64_u32 v[6:7], null, s21, v41, v[5:6]
	v_mul_lo_u32 v126, s22, v35
	s_waitcnt vmcnt(3)
	ds_store_b128 v22, v[8:11]
	v_lshlrev_b64 v[8:9], 4, v[23:24]
	v_mov_b32_e32 v7, v21
	v_mad_u64_u32 v[25:26], null, s20, v40, 0
	v_mov_b32_e32 v5, v6
	v_lshlrev_b64 v[21:22], 4, v[126:127]
	v_mul_lo_u32 v126, s22, v36
	v_add_co_u32 v6, vcc_lo, s0, v8
	v_add_co_ci_u32_e32 v9, vcc_lo, s1, v9, vcc_lo
	v_lshlrev_b64 v[4:5], 4, v[4:5]
	s_delay_alu instid0(VALU_DEP_3) | instskip(NEXT) | instid1(VALU_DEP_3)
	v_add_co_u32 v8, vcc_lo, v6, v21
	v_add_co_ci_u32_e32 v9, vcc_lo, v9, v22, vcc_lo
	v_lshlrev_b64 v[21:22], 4, v[126:127]
	s_delay_alu instid0(VALU_DEP_4) | instskip(SKIP_3) | instid1(VALU_DEP_4)
	v_add_co_u32 v4, vcc_lo, s0, v4
	v_add_co_ci_u32_e32 v5, vcc_lo, s1, v5, vcc_lo
	v_mad_u64_u32 v[23:24], null, s21, v44, v[7:8]
	v_mov_b32_e32 v10, v26
	v_add_co_u32 v26, vcc_lo, v4, v21
	s_delay_alu instid0(VALU_DEP_4)
	v_add_co_ci_u32_e32 v27, vcc_lo, v5, v22, vcc_lo
	global_load_b128 v[4:7], v[8:9], off
	v_mad_u64_u32 v[28:29], null, s21, v40, v[10:11]
	v_mov_b32_e32 v21, v23
	global_load_b128 v[8:11], v[26:27], off
	v_mul_lo_u32 v126, s22, v37
	v_mul_u32_u24_e32 v29, 0x1220, v31
	v_lshlrev_b32_e32 v31, 4, v38
	v_lshlrev_b64 v[20:21], 4, v[20:21]
	v_mov_b32_e32 v26, v28
	v_lshlrev_b64 v[22:23], 4, v[126:127]
	v_mul_lo_u32 v126, s22, v39
	s_delay_alu instid0(VALU_DEP_4) | instskip(SKIP_2) | instid1(VALU_DEP_3)
	v_add_co_u32 v24, vcc_lo, s0, v20
	v_add_co_ci_u32_e32 v27, vcc_lo, s1, v21, vcc_lo
	v_lshlrev_b64 v[20:21], 4, v[25:26]
	v_add_co_u32 v22, vcc_lo, v24, v22
	s_delay_alu instid0(VALU_DEP_3) | instskip(SKIP_1) | instid1(VALU_DEP_4)
	v_add_co_ci_u32_e32 v23, vcc_lo, v27, v23, vcc_lo
	v_lshlrev_b64 v[24:25], 4, v[126:127]
	v_add_co_u32 v20, vcc_lo, s0, v20
	v_add_co_ci_u32_e32 v21, vcc_lo, s1, v21, vcc_lo
	v_mul_u32_u24_e32 v26, 0x1220, v30
	s_delay_alu instid0(VALU_DEP_3) | instskip(NEXT) | instid1(VALU_DEP_3)
	v_add_co_u32 v24, vcc_lo, v20, v24
	v_add_co_ci_u32_e32 v25, vcc_lo, v21, v25, vcc_lo
	global_load_b128 v[20:23], v[22:23], off
	v_lshlrev_b32_e32 v27, 4, v33
	v_lshlrev_b32_e32 v30, 4, v34
	v_mul_u32_u24_e32 v39, 0x1220, v39
	s_delay_alu instid0(VALU_DEP_3)
	v_add3_u32 v28, 0, v26, v27
	global_load_b128 v[24:27], v[24:25], off
	s_waitcnt vmcnt(6)
	ds_store_b128 v28, v[0:3]
	v_add_nc_u16 v0, v150, 0x4a6
	v_add3_u32 v28, 0, v29, v30
	v_add_nc_u16 v1, v150, 0x51d
	v_add_nc_u16 v2, v150, 0x594
	v_add_nc_u16 v3, v150, 0x60b
	v_mul_u32_u24_e32 v30, 0x1220, v32
	v_add_nc_u16 v29, v150, 0x682
	v_add_nc_u16 v32, v150, 0x6f9
	s_waitcnt vmcnt(5)
	ds_store_b128 v28, v[12:15]
	v_and_b32_e32 v13, 0xffff, v0
	v_add_nc_u16 v12, v150, 0x770
	v_add3_u32 v14, 0, v30, v31
	v_and_b32_e32 v15, 0xffff, v1
	v_and_b32_e32 v28, 0xffff, v2
	;; [unrolled: 1-line block ×3, first 2 shown]
	v_mul_u32_u24_e32 v13, 0x717, v13
	v_and_b32_e32 v31, 0xffff, v29
	v_mul_u32_u24_e32 v15, 0x717, v15
	s_waitcnt vmcnt(4)
	ds_store_b128 v14, v[16:19]
	v_and_b32_e32 v14, 0xffff, v32
	v_and_b32_e32 v16, 0xffff, v12
	v_mul_u32_u24_e32 v17, 0x717, v28
	v_mul_u32_u24_e32 v18, 0x717, v30
	v_lshrrev_b32_e32 v28, 19, v13
	v_mul_u32_u24_e32 v19, 0x717, v31
	v_mul_u32_u24_e32 v14, 0x717, v14
	;; [unrolled: 1-line block ×3, first 2 shown]
	v_lshrrev_b32_e32 v30, 19, v15
	v_lshrrev_b32_e32 v31, 19, v17
	v_lshrrev_b32_e32 v33, 19, v18
	v_mul_lo_u16 v13, 0x121, v28
	v_lshrrev_b32_e32 v34, 19, v19
	v_lshrrev_b32_e32 v38, 19, v14
	;; [unrolled: 1-line block ×3, first 2 shown]
	v_mul_lo_u16 v14, 0x121, v30
	v_mul_lo_u16 v16, 0x121, v31
	v_sub_nc_u16 v0, v0, v13
	v_mul_lo_u16 v13, 0x121, v33
	v_mul_u32_u24_e32 v15, 0x1220, v35
	v_sub_nc_u16 v1, v1, v14
	v_mul_lo_u16 v14, 0x121, v34
	v_sub_nc_u16 v2, v2, v16
	v_mul_lo_u16 v16, 0x121, v38
	;; [unrolled: 2-line block ×3, first 2 shown]
	v_sub_nc_u16 v14, v29, v14
	v_and_b32_e32 v29, 0xffff, v0
	v_sub_nc_u16 v16, v32, v16
	v_and_b32_e32 v32, 0xffff, v1
	v_sub_nc_u16 v12, v12, v13
	v_lshlrev_b32_e32 v0, 4, v43
	v_mul_u32_u24_e32 v17, 0x1220, v36
	v_and_b32_e32 v35, 0xffff, v2
	v_lshlrev_b32_e32 v2, 4, v41
	v_and_b32_e32 v36, 0xffff, v3
	v_and_b32_e32 v45, 0xffff, v12
	v_add3_u32 v3, 0, v15, v0
	v_mad_u64_u32 v[12:13], null, s20, v32, 0
	v_add3_u32 v2, 0, v17, v2
	v_mad_u64_u32 v[0:1], null, s20, v29, 0
	s_waitcnt vmcnt(3)
	ds_store_b128 v3, v[4:7]
	v_mad_u64_u32 v[4:5], null, s20, v35, 0
	s_waitcnt vmcnt(2)
	ds_store_b128 v2, v[8:11]
	v_mov_b32_e32 v2, v13
	v_mad_u64_u32 v[6:7], null, s20, v36, 0
	v_mul_u32_u24_e32 v18, 0x1220, v37
	v_and_b32_e32 v43, 0xffff, v16
	s_delay_alu instid0(VALU_DEP_4)
	v_mad_u64_u32 v[8:9], null, s21, v29, v[1:2]
	v_mov_b32_e32 v1, v5
	v_lshlrev_b32_e32 v3, 4, v44
	v_and_b32_e32 v37, 0xffff, v14
	v_mul_lo_u32 v126, s22, v28
	v_mul_u32_u24_e32 v28, 0x1220, v28
	s_delay_alu instid0(VALU_DEP_4) | instskip(SKIP_3) | instid1(VALU_DEP_3)
	v_add3_u32 v16, 0, v18, v3
	v_mov_b32_e32 v3, v7
	v_mad_u64_u32 v[14:15], null, s20, v37, 0
	v_lshlrev_b32_e32 v40, 4, v40
	v_mad_u64_u32 v[9:10], null, s21, v32, v[2:3]
	v_mad_u64_u32 v[10:11], null, s21, v35, v[1:2]
	v_mov_b32_e32 v1, v8
	v_mad_u64_u32 v[7:8], null, s21, v36, v[3:4]
	s_delay_alu instid0(VALU_DEP_4) | instskip(NEXT) | instid1(VALU_DEP_3)
	v_dual_mov_b32 v2, v15 :: v_dual_mov_b32 v13, v9
	v_lshlrev_b64 v[0:1], 4, v[0:1]
	v_mad_u64_u32 v[8:9], null, s20, v43, 0
	v_mov_b32_e32 v5, v10
	v_mad_u64_u32 v[10:11], null, s20, v45, 0
	s_waitcnt vmcnt(1)
	ds_store_b128 v16, v[20:23]
	v_lshlrev_b64 v[15:16], 4, v[126:127]
	v_add_co_u32 v3, vcc_lo, s0, v0
	v_add_co_ci_u32_e32 v1, vcc_lo, s1, v1, vcc_lo
	v_mov_b32_e32 v0, v9
	s_delay_alu instid0(VALU_DEP_3) | instskip(NEXT) | instid1(VALU_DEP_3)
	v_add_co_u32 v17, vcc_lo, v3, v15
	v_add_co_ci_u32_e32 v18, vcc_lo, v1, v16, vcc_lo
	v_mov_b32_e32 v1, v11
	v_mad_u64_u32 v[15:16], null, s21, v37, v[2:3]
	v_mul_lo_u32 v126, s22, v30
	v_lshlrev_b64 v[12:13], 4, v[12:13]
	s_delay_alu instid0(VALU_DEP_4) | instskip(SKIP_3) | instid1(VALU_DEP_4)
	v_mad_u64_u32 v[2:3], null, s21, v43, v[0:1]
	v_lshlrev_b64 v[4:5], 4, v[4:5]
	v_lshlrev_b64 v[6:7], 4, v[6:7]
	v_add3_u32 v39, 0, v39, v40
	v_mad_u64_u32 v[19:20], null, s21, v45, v[1:2]
	v_mov_b32_e32 v9, v2
	global_load_b128 v[0:3], v[17:18], off
	v_lshlrev_b64 v[20:21], 4, v[126:127]
	v_mul_lo_u32 v126, s22, v31
	v_add_co_u32 v18, vcc_lo, s0, v12
	v_mov_b32_e32 v11, v19
	v_add_co_ci_u32_e32 v19, vcc_lo, s1, v13, vcc_lo
	v_lshlrev_b64 v[12:13], 4, v[14:15]
	s_delay_alu instid0(VALU_DEP_4)
	v_add_co_u32 v14, vcc_lo, v18, v20
	v_lshlrev_b64 v[16:17], 4, v[126:127]
	v_mul_lo_u32 v126, s22, v33
	v_add_co_ci_u32_e32 v15, vcc_lo, v19, v21, vcc_lo
	v_add_co_u32 v20, vcc_lo, s0, v4
	v_add_co_ci_u32_e32 v21, vcc_lo, s1, v5, vcc_lo
	v_lshlrev_b64 v[4:5], 4, v[8:9]
	v_lshlrev_b64 v[18:19], 4, v[126:127]
	v_mul_lo_u32 v126, s22, v34
	v_add_co_u32 v8, vcc_lo, v20, v16
	v_add_co_ci_u32_e32 v9, vcc_lo, v21, v17, vcc_lo
	v_add_co_u32 v6, vcc_lo, s0, v6
	v_add_co_ci_u32_e32 v7, vcc_lo, s1, v7, vcc_lo
	v_lshlrev_b64 v[16:17], 4, v[126:127]
	v_mul_lo_u32 v126, s22, v38
	s_delay_alu instid0(VALU_DEP_4) | instskip(NEXT) | instid1(VALU_DEP_4)
	v_add_co_u32 v18, vcc_lo, v6, v18
	v_add_co_ci_u32_e32 v19, vcc_lo, v7, v19, vcc_lo
	v_add_co_u32 v6, vcc_lo, s0, v12
	v_add_co_ci_u32_e32 v7, vcc_lo, s1, v13, vcc_lo
	v_add_co_u32 v12, vcc_lo, s0, v4
	v_lshlrev_b64 v[20:21], 4, v[10:11]
	v_lshlrev_b64 v[10:11], 4, v[126:127]
	v_mul_lo_u32 v126, s22, v42
	v_add_co_ci_u32_e32 v13, vcc_lo, s1, v5, vcc_lo
	v_add_co_u32 v16, vcc_lo, v6, v16
	v_add_co_ci_u32_e32 v17, vcc_lo, v7, v17, vcc_lo
	global_load_b128 v[4:7], v[14:15], off
	v_add_co_u32 v22, vcc_lo, v12, v10
	v_add_co_ci_u32_e32 v23, vcc_lo, v13, v11, vcc_lo
	global_load_b128 v[8:11], v[8:9], off
	v_lshlrev_b64 v[12:13], 4, v[126:127]
	v_lshlrev_b32_e32 v14, 4, v29
	v_add_co_u32 v15, vcc_lo, s0, v20
	v_add_co_ci_u32_e32 v20, vcc_lo, s1, v21, vcc_lo
	s_delay_alu instid0(VALU_DEP_3) | instskip(NEXT) | instid1(VALU_DEP_3)
	v_add3_u32 v40, 0, v28, v14
	v_add_co_u32 v28, vcc_lo, v15, v12
	s_delay_alu instid0(VALU_DEP_3)
	v_add_co_ci_u32_e32 v29, vcc_lo, v20, v13, vcc_lo
	s_waitcnt vmcnt(3)
	ds_store_b128 v39, v[24:27]
	s_clause 0x3
	global_load_b128 v[12:15], v[18:19], off
	global_load_b128 v[16:19], v[16:17], off
	;; [unrolled: 1-line block ×4, first 2 shown]
	v_lshlrev_b32_e32 v28, 4, v32
	v_mul_u32_u24_e32 v29, 0x1220, v31
	s_mov_b32 s22, 0x3259b75e
	s_mov_b32 s20, 0xc61f0d01
	;; [unrolled: 1-line block ×6, first 2 shown]
	s_waitcnt vmcnt(6)
	ds_store_b128 v40, v[0:3]
	v_mul_u32_u24_e32 v0, 0xf10, v150
	s_delay_alu instid0(VALU_DEP_1) | instskip(NEXT) | instid1(VALU_DEP_1)
	v_lshrrev_b32_e32 v0, 16, v0
	v_add_nc_u32_e32 v1, s65, v0
	v_mul_lo_u16 v0, v0, 17
	s_delay_alu instid0(VALU_DEP_2) | instskip(NEXT) | instid1(VALU_DEP_2)
	v_mul_hi_u32 v2, 0x24924925, v1
	v_sub_nc_u16 v0, v150, v0
	s_delay_alu instid0(VALU_DEP_1) | instskip(NEXT) | instid1(VALU_DEP_3)
	v_and_b32_e32 v0, 0xffff, v0
	v_sub_nc_u32_e32 v3, v1, v2
	s_delay_alu instid0(VALU_DEP_1) | instskip(NEXT) | instid1(VALU_DEP_1)
	v_lshrrev_b32_e32 v3, 1, v3
	v_add_nc_u32_e32 v2, v3, v2
	v_mul_u32_u24_e32 v3, 0x1220, v30
	v_lshlrev_b32_e32 v30, 4, v35
	s_delay_alu instid0(VALU_DEP_3) | instskip(NEXT) | instid1(VALU_DEP_3)
	v_lshrrev_b32_e32 v2, 2, v2
	v_add3_u32 v3, 0, v3, v28
	v_mul_u32_u24_e32 v28, 0x1220, v33
	s_delay_alu instid0(VALU_DEP_3)
	v_mul_lo_u32 v2, v2, 7
	s_waitcnt vmcnt(5)
	ds_store_b128 v3, v[4:7]
	v_sub_nc_u32_e32 v1, v1, v2
	v_mul_u32_u24_e32 v3, 0x1220, v34
	v_lshlrev_b32_e32 v4, 4, v37
	v_mul_u32_u24_e32 v5, 0x1220, v38
	v_lshlrev_b32_e32 v6, 4, v43
	v_mul_u32_u24_e32 v1, 0x122, v1
	v_add3_u32 v2, 0, v29, v30
	v_lshlrev_b32_e32 v29, 4, v36
	v_add3_u32 v3, 0, v3, v4
	v_add3_u32 v4, 0, v5, v6
	v_lshlrev_b32_e32 v1, 4, v1
	v_lshlrev_b32_e32 v6, 4, v0
	s_waitcnt vmcnt(4)
	ds_store_b128 v2, v[8:11]
	v_mul_u32_u24_e32 v7, 0x1220, v42
	v_lshlrev_b32_e32 v8, 4, v45
	v_add_nc_u32_e32 v193, 0, v1
	v_add3_u32 v2, 0, v28, v29
	v_add3_u32 v58, 0, v6, v1
	s_delay_alu instid0(VALU_DEP_4) | instskip(NEXT) | instid1(VALU_DEP_4)
	v_add3_u32 v5, 0, v7, v8
	v_add_nc_u32_e32 v41, v193, v6
	s_waitcnt vmcnt(3)
	ds_store_b128 v2, v[12:15]
	s_waitcnt vmcnt(2)
	ds_store_b128 v3, v[16:19]
	;; [unrolled: 2-line block ×4, first 2 shown]
	s_waitcnt lgkmcnt(0)
	s_barrier
	buffer_gl0_inv
	ds_load_b128 v[1:4], v41
	ds_load_b128 v[5:8], v58 offset:272
	ds_load_b128 v[9:12], v58 offset:544
	;; [unrolled: 1-line block ×3, first 2 shown]
	s_waitcnt lgkmcnt(2)
	v_add_f64 v[19:20], v[3:4], v[7:8]
	v_add_f64 v[17:18], v[1:2], v[5:6]
	s_waitcnt lgkmcnt(1)
	s_delay_alu instid0(VALU_DEP_2) | instskip(NEXT) | instid1(VALU_DEP_2)
	v_add_f64 v[19:20], v[19:20], v[11:12]
	v_add_f64 v[17:18], v[17:18], v[9:10]
	s_waitcnt lgkmcnt(0)
	s_delay_alu instid0(VALU_DEP_2) | instskip(NEXT) | instid1(VALU_DEP_2)
	v_add_f64 v[27:28], v[19:20], v[15:16]
	v_add_f64 v[25:26], v[17:18], v[13:14]
	ds_load_b128 v[17:20], v58 offset:1088
	ds_load_b128 v[21:24], v58 offset:1360
	s_waitcnt lgkmcnt(1)
	v_add_f64 v[27:28], v[27:28], v[19:20]
	v_add_f64 v[25:26], v[25:26], v[17:18]
	s_waitcnt lgkmcnt(0)
	s_delay_alu instid0(VALU_DEP_2) | instskip(NEXT) | instid1(VALU_DEP_2)
	v_add_f64 v[35:36], v[27:28], v[23:24]
	v_add_f64 v[33:34], v[25:26], v[21:22]
	ds_load_b128 v[25:28], v58 offset:1632
	ds_load_b128 v[29:32], v58 offset:1904
	s_waitcnt lgkmcnt(1)
	;; [unrolled: 9-line block ×3, first 2 shown]
	v_add_f64 v[98:99], v[33:34], -v[37:38]
	v_add_f64 v[100:101], v[35:36], -v[39:40]
	v_add_f64 v[48:49], v[44:45], v[35:36]
	v_add_f64 v[46:47], v[42:43], v[33:34]
	;; [unrolled: 1-line block ×4, first 2 shown]
	v_mul_f64 v[142:143], v[98:99], s[48:49]
	v_mul_f64 v[138:139], v[100:101], s[48:49]
	;; [unrolled: 1-line block ×6, first 2 shown]
	v_add_f64 v[52:53], v[48:49], v[39:40]
	v_add_f64 v[50:51], v[46:47], v[37:38]
	ds_load_b128 v[37:40], v58 offset:2720
	ds_load_b128 v[46:49], v58 offset:2992
	s_waitcnt lgkmcnt(1)
	v_add_f64 v[35:36], v[31:32], v[39:40]
	v_add_f64 v[104:105], v[31:32], -v[39:40]
	v_add_f64 v[33:34], v[29:30], v[37:38]
	v_add_f64 v[102:103], v[29:30], -v[37:38]
	s_waitcnt lgkmcnt(0)
	v_add_f64 v[31:32], v[27:28], v[48:49]
	v_add_f64 v[116:117], v[27:28], -v[48:49]
	v_add_f64 v[29:30], v[25:26], v[46:47]
	v_add_f64 v[106:107], v[25:26], -v[46:47]
	v_add_f64 v[39:40], v[52:53], v[39:40]
	v_add_f64 v[37:38], v[50:51], v[37:38]
	ds_load_b128 v[25:28], v58 offset:3264
	ds_load_b128 v[50:53], v58 offset:3536
	s_waitcnt lgkmcnt(1)
	v_add_f64 v[136:137], v[23:24], -v[27:28]
	v_add_f64 v[134:135], v[21:22], -v[25:26]
	s_waitcnt lgkmcnt(0)
	v_add_f64 v[140:141], v[17:18], -v[50:51]
	v_add_f64 v[144:145], v[19:20], -v[52:53]
	v_mul_f64 v[130:131], v[104:105], s[46:47]
	v_mul_f64 v[124:125], v[116:117], s[56:57]
	;; [unrolled: 1-line block ×12, first 2 shown]
	v_add_f64 v[48:49], v[39:40], v[48:49]
	v_add_f64 v[46:47], v[37:38], v[46:47]
	;; [unrolled: 1-line block ×4, first 2 shown]
	v_mul_f64 v[122:123], v[136:137], s[60:61]
	v_mul_f64 v[216:217], v[134:135], s[60:61]
	;; [unrolled: 1-line block ×10, first 2 shown]
	v_add_f64 v[23:24], v[48:49], v[27:28]
	v_add_f64 v[21:22], v[46:47], v[25:26]
	v_add_f64 v[46:47], v[17:18], v[50:51]
	v_add_f64 v[48:49], v[19:20], v[52:53]
	s_delay_alu instid0(VALU_DEP_4) | instskip(NEXT) | instid1(VALU_DEP_4)
	v_add_f64 v[27:28], v[23:24], v[52:53]
	v_add_f64 v[25:26], v[21:22], v[50:51]
	ds_load_b128 v[17:20], v58 offset:3808
	ds_load_b128 v[21:24], v58 offset:4080
	s_waitcnt lgkmcnt(1)
	v_add_f64 v[52:53], v[15:16], v[19:20]
	v_add_f64 v[148:149], v[15:16], -v[19:20]
	s_waitcnt lgkmcnt(0)
	v_add_f64 v[54:55], v[9:10], v[21:22]
	v_add_f64 v[56:57], v[11:12], v[23:24]
	v_add_f64 v[151:152], v[9:10], -v[21:22]
	v_add_f64 v[157:158], v[11:12], -v[23:24]
	ds_load_b128 v[9:12], v58 offset:4352
	v_add_f64 v[50:51], v[13:14], v[17:18]
	v_add_f64 v[146:147], v[13:14], -v[17:18]
	v_add_f64 v[15:16], v[27:28], v[19:20]
	v_add_f64 v[13:14], v[25:26], v[17:18]
	s_waitcnt lgkmcnt(0)
	v_add_f64 v[17:18], v[7:8], -v[11:12]
	v_add_f64 v[19:20], v[5:6], v[9:10]
	v_mul_f64 v[228:229], v[148:149], s[56:57]
	v_mul_f64 v[226:227], v[151:152], s[40:41]
	;; [unrolled: 1-line block ×6, first 2 shown]
	v_add_f64 v[15:16], v[15:16], v[23:24]
	v_add_f64 v[13:14], v[13:14], v[21:22]
	;; [unrolled: 1-line block ×3, first 2 shown]
	v_add_f64 v[23:24], v[5:6], -v[9:10]
	v_mul_f64 v[60:61], v[17:18], s[36:37]
	v_mul_f64 v[25:26], v[17:18], s[30:31]
	v_mul_f64 v[27:28], v[17:18], s[34:35]
	v_add_f64 v[7:8], v[15:16], v[11:12]
	v_mul_f64 v[11:12], v[17:18], s[44:45]
	v_add_f64 v[5:6], v[13:14], v[9:10]
	v_mul_f64 v[9:10], v[17:18], s[38:39]
	v_mul_f64 v[13:14], v[17:18], s[50:51]
	;; [unrolled: 1-line block ×6, first 2 shown]
	v_fma_f64 v[76:77], v[19:20], s[10:11], -v[60:61]
	v_fma_f64 v[78:79], v[19:20], s[10:11], v[60:61]
	v_mul_f64 v[60:61], v[23:24], s[44:45]
	v_fma_f64 v[72:73], v[19:20], s[20:21], -v[25:26]
	v_fma_f64 v[25:26], v[19:20], s[20:21], v[25:26]
	v_fma_f64 v[74:75], v[19:20], s[14:15], -v[27:28]
	v_fma_f64 v[27:28], v[19:20], s[14:15], v[27:28]
	v_mul_f64 v[84:85], v[23:24], s[30:31]
	v_mul_f64 v[86:87], v[23:24], s[34:35]
	;; [unrolled: 1-line block ×3, first 2 shown]
	v_fma_f64 v[64:65], v[19:20], s[26:27], -v[11:12]
	v_fma_f64 v[11:12], v[19:20], s[26:27], v[11:12]
	v_fma_f64 v[62:63], v[19:20], s[28:29], -v[9:10]
	v_fma_f64 v[9:10], v[19:20], s[28:29], v[9:10]
	;; [unrolled: 2-line block ×5, first 2 shown]
	v_fma_f64 v[94:95], v[21:22], s[26:27], -v[60:61]
	v_mul_f64 v[19:20], v[23:24], s[38:39]
	v_fma_f64 v[108:109], v[21:22], s[24:25], -v[66:67]
	v_mul_f64 v[23:24], v[23:24], s[40:41]
	v_fma_f64 v[110:111], v[21:22], s[22:23], v[82:83]
	v_fma_f64 v[82:83], v[21:22], s[22:23], -v[82:83]
	v_fma_f64 v[92:93], v[21:22], s[26:27], v[60:61]
	v_fma_f64 v[96:97], v[21:22], s[24:25], v[66:67]
	;; [unrolled: 1-line block ×3, first 2 shown]
	v_fma_f64 v[84:85], v[21:22], s[20:21], -v[84:85]
	v_fma_f64 v[114:115], v[21:22], s[14:15], v[86:87]
	v_fma_f64 v[86:87], v[21:22], s[14:15], -v[86:87]
	v_fma_f64 v[118:119], v[21:22], s[10:11], v[88:89]
	v_fma_f64 v[88:89], v[21:22], s[10:11], -v[88:89]
	v_add_f64 v[198:199], v[1:2], v[72:73]
	v_add_f64 v[25:26], v[1:2], v[25:26]
	;; [unrolled: 1-line block ×6, first 2 shown]
	v_mul_f64 v[72:73], v[146:147], s[50:51]
	v_mul_f64 v[74:75], v[144:145], s[42:43]
	;; [unrolled: 1-line block ×5, first 2 shown]
	v_add_f64 v[11:12], v[1:2], v[11:12]
	v_add_f64 v[9:10], v[1:2], v[9:10]
	;; [unrolled: 1-line block ×3, first 2 shown]
	v_mul_f64 v[68:69], v[151:152], s[44:45]
	v_add_f64 v[194:195], v[1:2], v[70:71]
	v_mul_f64 v[70:71], v[148:149], s[50:51]
	v_add_f64 v[189:190], v[1:2], v[80:81]
	v_mul_f64 v[80:81], v[134:135], s[30:31]
	v_fma_f64 v[90:91], v[21:22], s[28:29], v[19:20]
	v_fma_f64 v[19:20], v[21:22], s[28:29], -v[19:20]
	v_fma_f64 v[120:121], v[21:22], s[0:1], v[23:24]
	v_fma_f64 v[21:22], v[21:22], s[0:1], -v[23:24]
	v_add_f64 v[23:24], v[1:2], v[62:63]
	v_add_f64 v[196:197], v[3:4], v[110:111]
	;; [unrolled: 1-line block ×9, first 2 shown]
	v_mul_f64 v[84:85], v[106:107], s[34:35]
	v_mul_f64 v[86:87], v[104:105], s[36:37]
	v_mul_f64 v[88:89], v[102:103], s[36:37]
	v_mul_f64 v[110:111], v[151:152], s[42:43]
	v_mul_f64 v[112:113], v[148:149], s[34:35]
	v_mul_f64 v[114:115], v[146:147], s[34:35]
	v_mul_f64 v[118:119], v[144:145], s[40:41]
	scratch_store_b64 off, v[11:12], off offset:24 ; 8-byte Folded Spill
	v_add_f64 v[11:12], v[3:4], v[94:95]
	scratch_store_b64 off, v[9:10], off     ; 8-byte Folded Spill
	v_add_f64 v[90:91], v[3:4], v[90:91]
	v_add_f64 v[9:10], v[3:4], v[19:20]
	;; [unrolled: 1-line block ×5, first 2 shown]
	v_mul_f64 v[92:93], v[98:99], s[40:41]
	v_mul_f64 v[120:121], v[140:141], s[40:41]
	v_fma_f64 v[21:22], v[50:51], s[20:21], -v[228:229]
	scratch_store_b64 off, v[11:12], off offset:16 ; 8-byte Folded Spill
	v_add_f64 v[11:12], v[1:2], v[13:14]
	v_fma_f64 v[13:14], v[50:51], s[14:15], -v[112:113]
	scratch_store_b64 off, v[11:12], off offset:40 ; 8-byte Folded Spill
	v_add_f64 v[11:12], v[3:4], v[108:109]
	scratch_store_b64 off, v[9:10], off offset:8 ; 8-byte Folded Spill
	v_add_f64 v[9:10], v[1:2], v[64:65]
	v_mul_f64 v[64:65], v[157:158], s[44:45]
	v_mul_f64 v[108:109], v[157:158], s[42:43]
	scratch_store_b64 off, v[11:12], off offset:32 ; 8-byte Folded Spill
	v_add_f64 v[11:12], v[1:2], v[15:16]
	v_add_f64 v[1:2], v[1:2], v[17:18]
	scratch_store_b64 off, v[11:12], off offset:56 ; 8-byte Folded Spill
	v_add_f64 v[11:12], v[3:4], v[82:83]
	scratch_store_b64 off, v[1:2], off offset:64 ; 8-byte Folded Spill
	v_fma_f64 v[1:2], v[54:55], s[26:27], -v[64:65]
	v_fma_f64 v[3:4], v[56:57], s[26:27], v[68:69]
	v_mul_f64 v[82:83], v[116:117], s[34:35]
	scratch_store_b64 off, v[11:12], off offset:48 ; 8-byte Folded Spill
	v_fma_f64 v[11:12], v[50:51], s[24:25], -v[70:71]
	v_add_f64 v[1:2], v[1:2], v[23:24]
	v_add_f64 v[3:4], v[3:4], v[90:91]
	v_mul_f64 v[90:91], v[100:101], s[40:41]
	s_delay_alu instid0(VALU_DEP_3) | instskip(SKIP_1) | instid1(VALU_DEP_1)
	v_add_f64 v[1:2], v[11:12], v[1:2]
	v_fma_f64 v[11:12], v[52:53], s[24:25], v[72:73]
	v_add_f64 v[3:4], v[11:12], v[3:4]
	v_fma_f64 v[11:12], v[46:47], s[22:23], -v[74:75]
	s_delay_alu instid0(VALU_DEP_1) | instskip(SKIP_1) | instid1(VALU_DEP_1)
	v_add_f64 v[1:2], v[11:12], v[1:2]
	v_fma_f64 v[11:12], v[48:49], s[22:23], v[76:77]
	v_add_f64 v[3:4], v[11:12], v[3:4]
	v_fma_f64 v[11:12], v[37:38], s[20:21], -v[78:79]
	s_delay_alu instid0(VALU_DEP_1) | instskip(SKIP_1) | instid1(VALU_DEP_1)
	;; [unrolled: 5-line block ×5, first 2 shown]
	v_add_f64 v[1:2], v[11:12], v[1:2]
	v_fma_f64 v[11:12], v[44:45], s[0:1], v[92:93]
	v_add_f64 v[3:4], v[11:12], v[3:4]
	v_fma_f64 v[11:12], v[54:55], s[22:23], -v[108:109]
	s_delay_alu instid0(VALU_DEP_1) | instskip(SKIP_1) | instid1(VALU_DEP_2)
	v_add_f64 v[9:10], v[11:12], v[9:10]
	v_fma_f64 v[11:12], v[56:57], s[22:23], v[110:111]
	v_add_f64 v[9:10], v[13:14], v[9:10]
	s_delay_alu instid0(VALU_DEP_2) | instskip(SKIP_2) | instid1(VALU_DEP_2)
	v_add_f64 v[11:12], v[11:12], v[19:20]
	v_fma_f64 v[13:14], v[52:53], s[14:15], v[114:115]
	v_fma_f64 v[19:20], v[56:57], s[0:1], v[226:227]
	v_add_f64 v[11:12], v[13:14], v[11:12]
	v_fma_f64 v[13:14], v[46:47], s[0:1], -v[118:119]
	s_delay_alu instid0(VALU_DEP_3) | instskip(SKIP_1) | instid1(VALU_DEP_3)
	v_add_f64 v[19:20], v[19:20], v[196:197]
	v_mul_f64 v[196:197], v[148:149], s[52:53]
	v_add_f64 v[9:10], v[13:14], v[9:10]
	v_fma_f64 v[13:14], v[48:49], s[0:1], v[120:121]
	s_delay_alu instid0(VALU_DEP_1) | instskip(SKIP_1) | instid1(VALU_DEP_1)
	v_add_f64 v[11:12], v[13:14], v[11:12]
	v_fma_f64 v[13:14], v[37:38], s[10:11], -v[122:123]
	v_add_f64 v[9:10], v[13:14], v[9:10]
	v_fma_f64 v[13:14], v[39:40], s[10:11], v[216:217]
	s_delay_alu instid0(VALU_DEP_1) | instskip(SKIP_1) | instid1(VALU_DEP_1)
	v_add_f64 v[11:12], v[13:14], v[11:12]
	v_fma_f64 v[13:14], v[29:30], s[20:21], -v[124:125]
	;; [unrolled: 5-line block ×5, first 2 shown]
	v_add_f64 v[13:14], v[13:14], v[161:162]
	v_mul_f64 v[161:162], v[151:152], s[34:35]
	s_delay_alu instid0(VALU_DEP_1) | instskip(NEXT) | instid1(VALU_DEP_1)
	v_fma_f64 v[15:16], v[56:57], s[14:15], v[161:162]
	v_add_f64 v[15:16], v[15:16], v[163:164]
	v_mul_f64 v[163:164], v[148:149], s[62:63]
	s_delay_alu instid0(VALU_DEP_1) | instskip(NEXT) | instid1(VALU_DEP_1)
	v_fma_f64 v[17:18], v[50:51], s[0:1], -v[163:164]
	v_add_f64 v[13:14], v[17:18], v[13:14]
	v_fma_f64 v[17:18], v[52:53], s[0:1], v[165:166]
	s_delay_alu instid0(VALU_DEP_1) | instskip(SKIP_1) | instid1(VALU_DEP_1)
	v_add_f64 v[15:16], v[17:18], v[15:16]
	v_fma_f64 v[17:18], v[46:47], s[20:21], -v[167:168]
	v_add_f64 v[13:14], v[17:18], v[13:14]
	v_fma_f64 v[17:18], v[48:49], s[20:21], v[169:170]
	s_delay_alu instid0(VALU_DEP_1) | instskip(SKIP_1) | instid1(VALU_DEP_1)
	v_add_f64 v[15:16], v[17:18], v[15:16]
	;; [unrolled: 5-line block ×6, first 2 shown]
	v_fma_f64 v[17:18], v[54:55], s[0:1], -v[224:225]
	v_add_f64 v[17:18], v[17:18], v[194:195]
	v_mul_f64 v[194:195], v[151:152], s[60:61]
	s_delay_alu instid0(VALU_DEP_2) | instskip(SKIP_1) | instid1(VALU_DEP_3)
	v_add_f64 v[17:18], v[21:22], v[17:18]
	v_fma_f64 v[21:22], v[52:53], s[20:21], v[230:231]
	v_fma_f64 v[23:24], v[56:57], s[10:11], v[194:195]
	s_delay_alu instid0(VALU_DEP_2) | instskip(SKIP_1) | instid1(VALU_DEP_3)
	v_add_f64 v[19:20], v[21:22], v[19:20]
	v_fma_f64 v[21:22], v[46:47], s[28:29], -v[232:233]
	v_add_f64 v[23:24], v[23:24], v[200:201]
	s_delay_alu instid0(VALU_DEP_2) | instskip(SKIP_1) | instid1(VALU_DEP_1)
	v_add_f64 v[17:18], v[21:22], v[17:18]
	v_fma_f64 v[21:22], v[48:49], s[28:29], v[234:235]
	v_add_f64 v[19:20], v[21:22], v[19:20]
	v_fma_f64 v[21:22], v[37:38], s[24:25], -v[236:237]
	s_delay_alu instid0(VALU_DEP_1) | instskip(SKIP_1) | instid1(VALU_DEP_1)
	v_add_f64 v[17:18], v[21:22], v[17:18]
	v_fma_f64 v[21:22], v[39:40], s[24:25], v[238:239]
	v_add_f64 v[19:20], v[21:22], v[19:20]
	v_fma_f64 v[21:22], v[29:30], s[10:11], -v[240:241]
	s_delay_alu instid0(VALU_DEP_1) | instskip(SKIP_1) | instid1(VALU_DEP_1)
	;; [unrolled: 5-line block ×4, first 2 shown]
	v_add_f64 v[17:18], v[21:22], v[17:18]
	v_fma_f64 v[21:22], v[44:45], s[26:27], v[250:251]
	v_add_f64 v[19:20], v[21:22], v[19:20]
	v_fma_f64 v[21:22], v[54:55], s[10:11], -v[27:28]
	v_fma_f64 v[27:28], v[54:55], s[10:11], v[27:28]
	s_delay_alu instid0(VALU_DEP_2) | instskip(SKIP_1) | instid1(VALU_DEP_3)
	v_add_f64 v[21:22], v[21:22], v[198:199]
	v_fma_f64 v[198:199], v[50:51], s[26:27], -v[196:197]
	v_add_f64 v[25:26], v[27:28], v[25:26]
	v_fma_f64 v[27:28], v[56:57], s[10:11], -v[194:195]
	s_delay_alu instid0(VALU_DEP_3) | instskip(SKIP_1) | instid1(VALU_DEP_3)
	v_add_f64 v[21:22], v[198:199], v[21:22]
	v_mul_f64 v[198:199], v[146:147], s[52:53]
	v_add_f64 v[27:28], v[27:28], v[202:203]
	v_mul_f64 v[202:203], v[116:117], s[44:45]
	s_delay_alu instid0(VALU_DEP_3) | instskip(NEXT) | instid1(VALU_DEP_1)
	v_fma_f64 v[200:201], v[52:53], s[26:27], v[198:199]
	v_add_f64 v[23:24], v[200:201], v[23:24]
	v_mul_f64 v[200:201], v[144:145], s[50:51]
	s_delay_alu instid0(VALU_DEP_1) | instskip(NEXT) | instid1(VALU_DEP_1)
	v_fma_f64 v[252:253], v[46:47], s[24:25], -v[200:201]
	v_add_f64 v[21:22], v[252:253], v[21:22]
	v_mul_f64 v[252:253], v[140:141], s[50:51]
	s_delay_alu instid0(VALU_DEP_1) | instskip(NEXT) | instid1(VALU_DEP_1)
	v_fma_f64 v[254:255], v[48:49], s[24:25], v[252:253]
	v_add_f64 v[23:24], v[254:255], v[23:24]
	v_mul_f64 v[254:255], v[136:137], s[40:41]
	s_delay_alu instid0(VALU_DEP_1) | instskip(NEXT) | instid1(VALU_DEP_1)
	v_fma_f64 v[59:60], v[37:38], s[0:1], -v[254:255]
	v_add_f64 v[21:22], v[59:60], v[21:22]
	v_mul_f64 v[59:60], v[134:135], s[40:41]
	s_delay_alu instid0(VALU_DEP_1) | instskip(SKIP_1) | instid1(VALU_DEP_2)
	v_fma_f64 v[191:192], v[39:40], s[0:1], v[59:60]
	v_fma_f64 v[59:60], v[39:40], s[0:1], -v[59:60]
	v_add_f64 v[23:24], v[191:192], v[23:24]
	v_mul_f64 v[191:192], v[116:117], s[54:55]
	s_delay_alu instid0(VALU_DEP_1) | instskip(NEXT) | instid1(VALU_DEP_1)
	v_fma_f64 v[61:62], v[29:30], s[22:23], -v[191:192]
	v_add_f64 v[21:22], v[61:62], v[21:22]
	v_mul_f64 v[61:62], v[106:107], s[54:55]
	s_delay_alu instid0(VALU_DEP_1) | instskip(NEXT) | instid1(VALU_DEP_1)
	v_fma_f64 v[66:67], v[31:32], s[22:23], v[61:62]
	v_add_f64 v[23:24], v[66:67], v[23:24]
	v_mul_f64 v[66:67], v[104:105], s[38:39]
	s_delay_alu instid0(VALU_DEP_1) | instskip(NEXT) | instid1(VALU_DEP_1)
	v_fma_f64 v[94:95], v[33:34], s[28:29], -v[66:67]
	v_add_f64 v[21:22], v[94:95], v[21:22]
	v_mul_f64 v[94:95], v[102:103], s[38:39]
	s_delay_alu instid0(VALU_DEP_1) | instskip(NEXT) | instid1(VALU_DEP_1)
	v_fma_f64 v[96:97], v[35:36], s[28:29], v[94:95]
	;; [unrolled: 8-line block ×3, first 2 shown]
	v_add_f64 v[23:24], v[155:156], v[23:24]
	v_fma_f64 v[155:156], v[50:51], s[26:27], v[196:197]
	s_delay_alu instid0(VALU_DEP_1) | instskip(SKIP_2) | instid1(VALU_DEP_2)
	v_add_f64 v[25:26], v[155:156], v[25:26]
	v_fma_f64 v[155:156], v[52:53], s[26:27], -v[198:199]
	v_mul_f64 v[198:199], v[136:137], s[54:55]
	v_add_f64 v[27:28], v[155:156], v[27:28]
	v_fma_f64 v[155:156], v[46:47], s[24:25], v[200:201]
	v_mul_f64 v[200:201], v[134:135], s[54:55]
	s_delay_alu instid0(VALU_DEP_2) | instskip(SKIP_2) | instid1(VALU_DEP_2)
	v_add_f64 v[25:26], v[155:156], v[25:26]
	v_fma_f64 v[155:156], v[48:49], s[24:25], -v[252:253]
	v_mul_f64 v[252:253], v[102:103], s[40:41]
	v_add_f64 v[27:28], v[155:156], v[27:28]
	v_fma_f64 v[155:156], v[37:38], s[0:1], v[254:255]
	v_mul_f64 v[254:255], v[100:101], s[46:47]
	s_delay_alu instid0(VALU_DEP_3) | instskip(NEXT) | instid1(VALU_DEP_3)
	v_add_f64 v[27:28], v[59:60], v[27:28]
	v_add_f64 v[25:26], v[155:156], v[25:26]
	v_fma_f64 v[59:60], v[29:30], s[22:23], v[191:192]
	s_delay_alu instid0(VALU_DEP_1) | instskip(SKIP_2) | instid1(VALU_DEP_2)
	v_add_f64 v[25:26], v[59:60], v[25:26]
	v_fma_f64 v[59:60], v[31:32], s[22:23], -v[61:62]
	v_fma_f64 v[61:62], v[44:45], s[14:15], -v[153:154]
	v_add_f64 v[27:28], v[59:60], v[27:28]
	v_fma_f64 v[59:60], v[33:34], s[28:29], v[66:67]
	v_mul_f64 v[66:67], v[151:152], s[56:57]
	s_delay_alu instid0(VALU_DEP_2) | instskip(SKIP_1) | instid1(VALU_DEP_3)
	v_add_f64 v[25:26], v[59:60], v[25:26]
	v_fma_f64 v[59:60], v[35:36], s[28:29], -v[94:95]
	v_fma_f64 v[94:95], v[56:57], s[20:21], v[66:67]
	v_fma_f64 v[66:67], v[56:57], s[20:21], -v[66:67]
	s_delay_alu instid0(VALU_DEP_3)
	v_add_f64 v[27:28], v[59:60], v[27:28]
	v_fma_f64 v[59:60], v[42:43], s[14:15], v[96:97]
	v_mul_f64 v[96:97], v[148:149], s[38:39]
	v_add_f64 v[94:95], v[94:95], v[206:207]
	v_mul_f64 v[206:207], v[104:105], s[40:41]
	v_add_f64 v[66:67], v[66:67], v[210:211]
	v_mul_f64 v[210:211], v[116:117], s[40:41]
	v_mul_f64 v[116:117], v[116:117], s[46:47]
	v_add_f64 v[27:28], v[61:62], v[27:28]
	v_add_f64 v[25:26], v[59:60], v[25:26]
	v_mul_f64 v[59:60], v[157:158], s[56:57]
	v_fma_f64 v[153:154], v[50:51], s[28:29], -v[96:97]
	s_delay_alu instid0(VALU_DEP_2) | instskip(SKIP_1) | instid1(VALU_DEP_2)
	v_fma_f64 v[61:62], v[54:55], s[20:21], -v[59:60]
	v_fma_f64 v[59:60], v[54:55], s[20:21], v[59:60]
	v_add_f64 v[61:62], v[61:62], v[204:205]
	v_mul_f64 v[204:205], v[106:107], s[44:45]
	s_delay_alu instid0(VALU_DEP_3) | instskip(SKIP_4) | instid1(VALU_DEP_1)
	v_add_f64 v[59:60], v[59:60], v[208:209]
	v_mul_f64 v[208:209], v[134:135], s[38:39]
	v_mul_f64 v[134:135], v[134:135], s[34:35]
	v_add_f64 v[61:62], v[153:154], v[61:62]
	v_mul_f64 v[153:154], v[146:147], s[38:39]
	v_fma_f64 v[155:156], v[52:53], s[28:29], v[153:154]
	s_delay_alu instid0(VALU_DEP_1) | instskip(SKIP_1) | instid1(VALU_DEP_1)
	v_add_f64 v[94:95], v[155:156], v[94:95]
	v_mul_f64 v[155:156], v[144:145], s[36:37]
	v_fma_f64 v[191:192], v[46:47], s[10:11], -v[155:156]
	s_delay_alu instid0(VALU_DEP_1) | instskip(SKIP_1) | instid1(VALU_DEP_1)
	v_add_f64 v[61:62], v[191:192], v[61:62]
	v_mul_f64 v[191:192], v[140:141], s[36:37]
	v_fma_f64 v[194:195], v[48:49], s[10:11], v[191:192]
	s_delay_alu instid0(VALU_DEP_1) | instskip(SKIP_1) | instid1(VALU_DEP_1)
	v_add_f64 v[94:95], v[194:195], v[94:95]
	v_fma_f64 v[194:195], v[37:38], s[22:23], -v[198:199]
	v_add_f64 v[61:62], v[194:195], v[61:62]
	v_fma_f64 v[194:195], v[39:40], s[22:23], v[200:201]
	s_delay_alu instid0(VALU_DEP_1) | instskip(SKIP_1) | instid1(VALU_DEP_1)
	v_add_f64 v[94:95], v[194:195], v[94:95]
	v_fma_f64 v[194:195], v[29:30], s[26:27], -v[202:203]
	v_add_f64 v[61:62], v[194:195], v[61:62]
	;; [unrolled: 5-line block ×4, first 2 shown]
	v_mul_f64 v[61:62], v[98:99], s[46:47]
	s_delay_alu instid0(VALU_DEP_1) | instskip(SKIP_1) | instid1(VALU_DEP_2)
	v_fma_f64 v[196:197], v[44:45], s[24:25], v[61:62]
	v_fma_f64 v[61:62], v[44:45], s[24:25], -v[61:62]
	v_add_f64 v[196:197], v[196:197], v[94:95]
	v_fma_f64 v[94:95], v[50:51], s[28:29], v[96:97]
	v_mul_f64 v[96:97], v[148:149], s[42:43]
	s_delay_alu instid0(VALU_DEP_2) | instskip(SKIP_1) | instid1(VALU_DEP_3)
	v_add_f64 v[59:60], v[94:95], v[59:60]
	v_fma_f64 v[94:95], v[52:53], s[28:29], -v[153:154]
	v_fma_f64 v[153:154], v[50:51], s[22:23], -v[96:97]
	s_delay_alu instid0(VALU_DEP_2) | instskip(SKIP_1) | instid1(VALU_DEP_1)
	v_add_f64 v[66:67], v[94:95], v[66:67]
	v_fma_f64 v[94:95], v[46:47], s[10:11], v[155:156]
	v_add_f64 v[59:60], v[94:95], v[59:60]
	v_fma_f64 v[94:95], v[48:49], s[10:11], -v[191:192]
	s_delay_alu instid0(VALU_DEP_1) | instskip(SKIP_1) | instid1(VALU_DEP_1)
	v_add_f64 v[66:67], v[94:95], v[66:67]
	v_fma_f64 v[94:95], v[37:38], s[22:23], v[198:199]
	v_add_f64 v[59:60], v[94:95], v[59:60]
	v_fma_f64 v[94:95], v[39:40], s[22:23], -v[200:201]
	s_delay_alu instid0(VALU_DEP_1) | instskip(SKIP_1) | instid1(VALU_DEP_1)
	v_add_f64 v[66:67], v[94:95], v[66:67]
	v_fma_f64 v[94:95], v[29:30], s[26:27], v[202:203]
	v_add_f64 v[59:60], v[94:95], v[59:60]
	v_fma_f64 v[94:95], v[31:32], s[26:27], -v[204:205]
	s_delay_alu instid0(VALU_DEP_1) | instskip(SKIP_3) | instid1(VALU_DEP_3)
	v_add_f64 v[66:67], v[94:95], v[66:67]
	v_fma_f64 v[94:95], v[33:34], s[0:1], v[206:207]
	v_mul_f64 v[206:207], v[136:137], s[38:39]
	v_mul_f64 v[136:137], v[136:137], s[34:35]
	v_add_f64 v[59:60], v[94:95], v[59:60]
	v_fma_f64 v[94:95], v[35:36], s[0:1], -v[252:253]
	v_mul_f64 v[252:253], v[102:103], s[52:53]
	v_mul_f64 v[102:103], v[102:103], s[30:31]
	s_delay_alu instid0(VALU_DEP_3) | instskip(SKIP_2) | instid1(VALU_DEP_3)
	v_add_f64 v[66:67], v[94:95], v[66:67]
	v_fma_f64 v[94:95], v[42:43], s[24:25], v[254:255]
	v_mul_f64 v[254:255], v[100:101], s[30:31]
	v_add_f64 v[200:201], v[61:62], v[66:67]
	s_delay_alu instid0(VALU_DEP_3) | instskip(SKIP_2) | instid1(VALU_DEP_2)
	v_add_f64 v[198:199], v[94:95], v[59:60]
	v_mul_f64 v[59:60], v[157:158], s[46:47]
	v_mul_f64 v[66:67], v[151:152], s[46:47]
	v_fma_f64 v[61:62], v[54:55], s[24:25], -v[59:60]
	s_delay_alu instid0(VALU_DEP_2) | instskip(SKIP_2) | instid1(VALU_DEP_4)
	v_fma_f64 v[94:95], v[56:57], s[24:25], v[66:67]
	v_fma_f64 v[59:60], v[54:55], s[24:25], v[59:60]
	v_fma_f64 v[66:67], v[56:57], s[24:25], -v[66:67]
	v_add_f64 v[61:62], v[61:62], v[212:213]
	s_delay_alu instid0(VALU_DEP_4)
	v_add_f64 v[94:95], v[94:95], v[214:215]
	v_mul_f64 v[212:213], v[106:107], s[40:41]
	v_mul_f64 v[214:215], v[104:105], s[52:53]
	v_add_f64 v[59:60], v[59:60], v[218:219]
	v_add_f64 v[66:67], v[66:67], v[220:221]
	v_mul_f64 v[106:107], v[106:107], s[46:47]
	v_mul_f64 v[104:105], v[104:105], s[30:31]
	v_add_f64 v[61:62], v[153:154], v[61:62]
	v_mul_f64 v[153:154], v[146:147], s[42:43]
	v_mul_f64 v[146:147], v[146:147], s[36:37]
	s_delay_alu instid0(VALU_DEP_2) | instskip(NEXT) | instid1(VALU_DEP_1)
	v_fma_f64 v[155:156], v[52:53], s[22:23], v[153:154]
	v_add_f64 v[94:95], v[155:156], v[94:95]
	v_mul_f64 v[155:156], v[144:145], s[58:59]
	v_mul_f64 v[144:145], v[144:145], s[52:53]
	s_delay_alu instid0(VALU_DEP_2) | instskip(NEXT) | instid1(VALU_DEP_1)
	v_fma_f64 v[191:192], v[46:47], s[14:15], -v[155:156]
	v_add_f64 v[61:62], v[191:192], v[61:62]
	v_mul_f64 v[191:192], v[140:141], s[58:59]
	v_mul_f64 v[140:141], v[140:141], s[52:53]
	s_delay_alu instid0(VALU_DEP_2) | instskip(NEXT) | instid1(VALU_DEP_1)
	v_fma_f64 v[202:203], v[48:49], s[14:15], v[191:192]
	v_add_f64 v[94:95], v[202:203], v[94:95]
	v_fma_f64 v[202:203], v[37:38], s[28:29], -v[206:207]
	s_delay_alu instid0(VALU_DEP_1) | instskip(SKIP_1) | instid1(VALU_DEP_1)
	v_add_f64 v[61:62], v[202:203], v[61:62]
	v_fma_f64 v[202:203], v[39:40], s[28:29], v[208:209]
	v_add_f64 v[94:95], v[202:203], v[94:95]
	v_fma_f64 v[202:203], v[29:30], s[0:1], -v[210:211]
	s_delay_alu instid0(VALU_DEP_1) | instskip(SKIP_1) | instid1(VALU_DEP_1)
	v_add_f64 v[61:62], v[202:203], v[61:62]
	;; [unrolled: 5-line block ×4, first 2 shown]
	v_mul_f64 v[61:62], v[98:99], s[30:31]
	v_fma_f64 v[204:205], v[44:45], s[20:21], v[61:62]
	v_fma_f64 v[61:62], v[44:45], s[20:21], -v[61:62]
	s_delay_alu instid0(VALU_DEP_2) | instskip(SKIP_2) | instid1(VALU_DEP_2)
	v_add_f64 v[204:205], v[204:205], v[94:95]
	v_fma_f64 v[94:95], v[50:51], s[22:23], v[96:97]
	v_mul_f64 v[96:97], v[148:149], s[36:37]
	v_add_f64 v[59:60], v[94:95], v[59:60]
	v_fma_f64 v[94:95], v[52:53], s[22:23], -v[153:154]
	s_delay_alu instid0(VALU_DEP_3) | instskip(NEXT) | instid1(VALU_DEP_2)
	v_fma_f64 v[148:149], v[50:51], s[10:11], -v[96:97]
	v_add_f64 v[66:67], v[94:95], v[66:67]
	v_fma_f64 v[94:95], v[46:47], s[14:15], v[155:156]
	s_delay_alu instid0(VALU_DEP_1) | instskip(SKIP_1) | instid1(VALU_DEP_1)
	v_add_f64 v[59:60], v[94:95], v[59:60]
	v_fma_f64 v[94:95], v[48:49], s[14:15], -v[191:192]
	v_add_f64 v[66:67], v[94:95], v[66:67]
	v_fma_f64 v[94:95], v[37:38], s[28:29], v[206:207]
	s_delay_alu instid0(VALU_DEP_1) | instskip(SKIP_1) | instid1(VALU_DEP_1)
	v_add_f64 v[59:60], v[94:95], v[59:60]
	;; [unrolled: 5-line block ×4, first 2 shown]
	v_fma_f64 v[94:95], v[35:36], s[26:27], -v[252:253]
	v_add_f64 v[66:67], v[94:95], v[66:67]
	v_fma_f64 v[94:95], v[42:43], s[20:21], v[254:255]
	s_delay_alu instid0(VALU_DEP_2) | instskip(NEXT) | instid1(VALU_DEP_2)
	v_add_f64 v[208:209], v[61:62], v[66:67]
	v_add_f64 v[206:207], v[94:95], v[59:60]
	v_mul_f64 v[59:60], v[157:158], s[48:49]
	v_mul_f64 v[66:67], v[151:152], s[48:49]
	;; [unrolled: 1-line block ×3, first 2 shown]
	s_delay_alu instid0(VALU_DEP_3) | instskip(NEXT) | instid1(VALU_DEP_3)
	v_fma_f64 v[61:62], v[54:55], s[28:29], -v[59:60]
	v_fma_f64 v[94:95], v[56:57], s[28:29], v[66:67]
	v_fma_f64 v[59:60], v[54:55], s[28:29], v[59:60]
	s_delay_alu instid0(VALU_DEP_3) | instskip(NEXT) | instid1(VALU_DEP_3)
	v_add_f64 v[61:62], v[61:62], v[189:190]
	v_add_f64 v[94:95], v[94:95], v[222:223]
	s_delay_alu instid0(VALU_DEP_2) | instskip(SKIP_1) | instid1(VALU_DEP_1)
	v_add_f64 v[61:62], v[148:149], v[61:62]
	v_fma_f64 v[148:149], v[52:53], s[10:11], v[146:147]
	v_add_f64 v[94:95], v[148:149], v[94:95]
	v_fma_f64 v[148:149], v[46:47], s[26:27], -v[144:145]
	s_delay_alu instid0(VALU_DEP_1) | instskip(SKIP_1) | instid1(VALU_DEP_1)
	v_add_f64 v[61:62], v[148:149], v[61:62]
	v_fma_f64 v[148:149], v[48:49], s[26:27], v[140:141]
	v_add_f64 v[94:95], v[148:149], v[94:95]
	v_fma_f64 v[148:149], v[37:38], s[14:15], -v[136:137]
	s_delay_alu instid0(VALU_DEP_1) | instskip(SKIP_1) | instid1(VALU_DEP_1)
	;; [unrolled: 5-line block ×4, first 2 shown]
	v_add_f64 v[61:62], v[148:149], v[61:62]
	v_fma_f64 v[148:149], v[35:36], s[20:21], v[102:103]
	v_add_f64 v[94:95], v[148:149], v[94:95]
	v_mul_f64 v[148:149], v[100:101], s[54:55]
	s_delay_alu instid0(VALU_DEP_1) | instskip(NEXT) | instid1(VALU_DEP_1)
	v_fma_f64 v[98:99], v[42:43], s[22:23], -v[148:149]
	v_add_f64 v[98:99], v[98:99], v[61:62]
	v_fma_f64 v[61:62], v[44:45], s[22:23], v[151:152]
	s_delay_alu instid0(VALU_DEP_1)
	v_add_f64 v[100:101], v[61:62], v[94:95]
	scratch_load_b64 v[61:62], off, off offset:64 ; 8-byte Folded Reload
	v_fma_f64 v[94:95], v[44:45], s[22:23], -v[151:152]
	s_waitcnt vmcnt(0)
	v_add_f64 v[59:60], v[59:60], v[61:62]
	v_fma_f64 v[61:62], v[56:57], s[28:29], -v[66:67]
	v_fma_f64 v[66:67], v[50:51], s[10:11], v[96:97]
	v_fma_f64 v[96:97], v[44:45], s[10:11], -v[185:186]
	s_delay_alu instid0(VALU_DEP_3) | instskip(NEXT) | instid1(VALU_DEP_3)
	v_add_f64 v[61:62], v[61:62], v[187:188]
	v_add_f64 v[59:60], v[66:67], v[59:60]
	v_fma_f64 v[66:67], v[52:53], s[10:11], -v[146:147]
	s_delay_alu instid0(VALU_DEP_1) | instskip(SKIP_1) | instid1(VALU_DEP_1)
	v_add_f64 v[61:62], v[66:67], v[61:62]
	v_fma_f64 v[66:67], v[46:47], s[26:27], v[144:145]
	v_add_f64 v[59:60], v[66:67], v[59:60]
	v_fma_f64 v[66:67], v[48:49], s[26:27], -v[140:141]
	s_delay_alu instid0(VALU_DEP_1) | instskip(SKIP_1) | instid1(VALU_DEP_1)
	v_add_f64 v[61:62], v[66:67], v[61:62]
	v_fma_f64 v[66:67], v[37:38], s[14:15], v[136:137]
	;; [unrolled: 5-line block ×4, first 2 shown]
	v_add_f64 v[59:60], v[66:67], v[59:60]
	v_fma_f64 v[66:67], v[35:36], s[20:21], -v[102:103]
	s_delay_alu instid0(VALU_DEP_1) | instskip(SKIP_1) | instid1(VALU_DEP_2)
	v_add_f64 v[61:62], v[66:67], v[61:62]
	v_fma_f64 v[66:67], v[42:43], s[22:23], v[148:149]
	v_add_f64 v[104:105], v[94:95], v[61:62]
	scratch_load_b64 v[61:62], off, off offset:56 ; 8-byte Folded Reload
	v_add_f64 v[102:103], v[66:67], v[59:60]
	scratch_load_b64 v[66:67], off, off offset:48 ; 8-byte Folded Reload
	v_fma_f64 v[59:60], v[54:55], s[0:1], v[224:225]
	v_fma_f64 v[94:95], v[44:45], s[26:27], -v[250:251]
	s_waitcnt vmcnt(1)
	s_delay_alu instid0(VALU_DEP_2) | instskip(SKIP_2) | instid1(VALU_DEP_1)
	v_add_f64 v[59:60], v[59:60], v[61:62]
	v_fma_f64 v[61:62], v[56:57], s[0:1], -v[226:227]
	s_waitcnt vmcnt(0)
	v_add_f64 v[61:62], v[61:62], v[66:67]
	v_fma_f64 v[66:67], v[50:51], s[20:21], v[228:229]
	s_delay_alu instid0(VALU_DEP_1) | instskip(SKIP_1) | instid1(VALU_DEP_1)
	v_add_f64 v[59:60], v[66:67], v[59:60]
	v_fma_f64 v[66:67], v[52:53], s[20:21], -v[230:231]
	v_add_f64 v[61:62], v[66:67], v[61:62]
	v_fma_f64 v[66:67], v[46:47], s[28:29], v[232:233]
	s_delay_alu instid0(VALU_DEP_1) | instskip(SKIP_1) | instid1(VALU_DEP_1)
	v_add_f64 v[59:60], v[66:67], v[59:60]
	v_fma_f64 v[66:67], v[48:49], s[28:29], -v[234:235]
	;; [unrolled: 5-line block ×5, first 2 shown]
	v_add_f64 v[61:62], v[66:67], v[61:62]
	v_fma_f64 v[66:67], v[42:43], s[26:27], v[248:249]
	s_delay_alu instid0(VALU_DEP_2)
	v_add_f64 v[136:137], v[94:95], v[61:62]
	scratch_load_b64 v[61:62], off, off offset:40 ; 8-byte Folded Reload
	v_add_f64 v[134:135], v[66:67], v[59:60]
	scratch_load_b64 v[66:67], off, off offset:32 ; 8-byte Folded Reload
	v_fma_f64 v[59:60], v[54:55], s[14:15], v[159:160]
	s_waitcnt vmcnt(1)
	s_delay_alu instid0(VALU_DEP_1) | instskip(SKIP_2) | instid1(VALU_DEP_1)
	v_add_f64 v[59:60], v[59:60], v[61:62]
	v_fma_f64 v[61:62], v[56:57], s[14:15], -v[161:162]
	s_waitcnt vmcnt(0)
	v_add_f64 v[61:62], v[61:62], v[66:67]
	v_fma_f64 v[66:67], v[50:51], s[0:1], v[163:164]
	s_delay_alu instid0(VALU_DEP_1) | instskip(SKIP_1) | instid1(VALU_DEP_1)
	v_add_f64 v[59:60], v[66:67], v[59:60]
	v_fma_f64 v[66:67], v[52:53], s[0:1], -v[165:166]
	v_add_f64 v[61:62], v[66:67], v[61:62]
	v_fma_f64 v[66:67], v[46:47], s[20:21], v[167:168]
	s_delay_alu instid0(VALU_DEP_1) | instskip(SKIP_1) | instid1(VALU_DEP_1)
	v_add_f64 v[59:60], v[66:67], v[59:60]
	v_fma_f64 v[66:67], v[48:49], s[20:21], -v[169:170]
	;; [unrolled: 5-line block ×5, first 2 shown]
	v_add_f64 v[61:62], v[66:67], v[61:62]
	v_fma_f64 v[66:67], v[42:43], s[10:11], v[183:184]
	s_delay_alu instid0(VALU_DEP_2)
	v_add_f64 v[96:97], v[96:97], v[61:62]
	scratch_load_b64 v[61:62], off, off offset:24 ; 8-byte Folded Reload
	v_add_f64 v[94:95], v[66:67], v[59:60]
	scratch_load_b64 v[66:67], off, off offset:16 ; 8-byte Folded Reload
	v_fma_f64 v[59:60], v[54:55], s[22:23], v[108:109]
	v_fma_f64 v[54:55], v[54:55], s[26:27], v[64:65]
	v_fma_f64 v[108:109], v[44:45], s[28:29], -v[142:143]
	s_waitcnt vmcnt(1)
	s_delay_alu instid0(VALU_DEP_3) | instskip(SKIP_3) | instid1(VALU_DEP_2)
	v_add_f64 v[59:60], v[59:60], v[61:62]
	v_fma_f64 v[61:62], v[56:57], s[22:23], -v[110:111]
	v_fma_f64 v[56:57], v[56:57], s[26:27], -v[68:69]
	s_waitcnt vmcnt(0)
	v_add_f64 v[61:62], v[61:62], v[66:67]
	v_fma_f64 v[66:67], v[50:51], s[14:15], v[112:113]
	v_fma_f64 v[50:51], v[50:51], s[24:25], v[70:71]
	s_delay_alu instid0(VALU_DEP_2) | instskip(SKIP_2) | instid1(VALU_DEP_2)
	v_add_f64 v[59:60], v[66:67], v[59:60]
	v_fma_f64 v[66:67], v[52:53], s[14:15], -v[114:115]
	v_fma_f64 v[52:53], v[52:53], s[24:25], -v[72:73]
	v_add_f64 v[61:62], v[66:67], v[61:62]
	v_fma_f64 v[66:67], v[46:47], s[0:1], v[118:119]
	v_fma_f64 v[46:47], v[46:47], s[22:23], v[74:75]
	s_delay_alu instid0(VALU_DEP_2) | instskip(SKIP_2) | instid1(VALU_DEP_2)
	v_add_f64 v[59:60], v[66:67], v[59:60]
	v_fma_f64 v[66:67], v[48:49], s[0:1], -v[120:121]
	v_fma_f64 v[48:49], v[48:49], s[22:23], -v[76:77]
	v_add_f64 v[61:62], v[66:67], v[61:62]
	v_fma_f64 v[66:67], v[37:38], s[10:11], v[122:123]
	v_fma_f64 v[37:38], v[37:38], s[20:21], v[78:79]
	s_delay_alu instid0(VALU_DEP_2) | instskip(SKIP_2) | instid1(VALU_DEP_2)
	v_add_f64 v[59:60], v[66:67], v[59:60]
	v_fma_f64 v[66:67], v[39:40], s[10:11], -v[216:217]
	v_fma_f64 v[39:40], v[39:40], s[20:21], -v[80:81]
	v_add_f64 v[61:62], v[66:67], v[61:62]
	v_fma_f64 v[66:67], v[29:30], s[20:21], v[124:125]
	v_fma_f64 v[29:30], v[29:30], s[14:15], v[82:83]
	s_delay_alu instid0(VALU_DEP_2) | instskip(SKIP_2) | instid1(VALU_DEP_2)
	v_add_f64 v[59:60], v[66:67], v[59:60]
	v_fma_f64 v[66:67], v[31:32], s[20:21], -v[128:129]
	v_fma_f64 v[31:32], v[31:32], s[14:15], -v[84:85]
	v_add_f64 v[61:62], v[66:67], v[61:62]
	v_fma_f64 v[66:67], v[33:34], s[24:25], v[130:131]
	v_fma_f64 v[33:34], v[33:34], s[10:11], v[86:87]
	s_delay_alu instid0(VALU_DEP_2) | instskip(SKIP_2) | instid1(VALU_DEP_2)
	v_add_f64 v[59:60], v[66:67], v[59:60]
	v_fma_f64 v[66:67], v[35:36], s[24:25], -v[132:133]
	v_fma_f64 v[35:36], v[35:36], s[10:11], -v[88:89]
	v_add_f64 v[61:62], v[66:67], v[61:62]
	v_fma_f64 v[66:67], v[42:43], s[28:29], v[138:139]
	s_delay_alu instid0(VALU_DEP_2) | instskip(NEXT) | instid1(VALU_DEP_2)
	v_add_f64 v[108:109], v[108:109], v[61:62]
	v_add_f64 v[106:107], v[66:67], v[59:60]
	scratch_load_b64 v[59:60], off, off     ; 8-byte Folded Reload
	s_waitcnt vmcnt(0)
	v_add_f64 v[54:55], v[54:55], v[59:60]
	scratch_load_b64 v[59:60], off, off offset:8 ; 8-byte Folded Reload
	s_waitcnt vmcnt(0)
	s_waitcnt_vscnt null, 0x0
	s_barrier
	buffer_gl0_inv
	v_add_f64 v[50:51], v[50:51], v[54:55]
	s_delay_alu instid0(VALU_DEP_1) | instskip(NEXT) | instid1(VALU_DEP_1)
	v_add_f64 v[46:47], v[46:47], v[50:51]
	v_add_f64 v[37:38], v[37:38], v[46:47]
	s_delay_alu instid0(VALU_DEP_1) | instskip(NEXT) | instid1(VALU_DEP_1)
	v_add_f64 v[29:30], v[29:30], v[37:38]
	v_add_f64 v[29:30], v[33:34], v[29:30]
	v_fma_f64 v[33:34], v[42:43], s[0:1], v[90:91]
	s_delay_alu instid0(VALU_DEP_1)
	v_add_f64 v[29:30], v[33:34], v[29:30]
	v_mad_u32_u24 v33, 0x110, v0, v193
	ds_store_b128 v33, v[5:8]
	ds_store_b128 v33, v[1:4] offset:16
	ds_store_b128 v33, v[9:12] offset:32
	;; [unrolled: 1-line block ×15, first 2 shown]
	v_lshlrev_b32_e32 v17, 8, v0
	v_add_f64 v[56:57], v[56:57], v[59:60]
	s_delay_alu instid0(VALU_DEP_1) | instskip(NEXT) | instid1(VALU_DEP_1)
	v_add_f64 v[52:53], v[52:53], v[56:57]
	v_add_f64 v[48:49], v[48:49], v[52:53]
	s_delay_alu instid0(VALU_DEP_1) | instskip(NEXT) | instid1(VALU_DEP_1)
	v_add_f64 v[39:40], v[39:40], v[48:49]
	v_add_f64 v[31:32], v[31:32], v[39:40]
	s_delay_alu instid0(VALU_DEP_1) | instskip(SKIP_1) | instid1(VALU_DEP_1)
	v_add_f64 v[31:32], v[35:36], v[31:32]
	v_fma_f64 v[35:36], v[44:45], s[0:1], -v[92:93]
	v_add_f64 v[31:32], v[35:36], v[31:32]
	ds_store_b128 v33, v[29:32] offset:256
	s_waitcnt lgkmcnt(0)
	s_barrier
	buffer_gl0_inv
	s_clause 0x3
	global_load_b128 v[13:16], v17, s[4:5]
	global_load_b128 v[9:12], v17, s[4:5] offset:16
	global_load_b128 v[5:8], v17, s[4:5] offset:32
	;; [unrolled: 1-line block ×3, first 2 shown]
	ds_load_b128 v[18:21], v58 offset:272
	ds_load_b128 v[37:40], v41
	ds_load_b128 v[22:25], v58 offset:544
	ds_load_b128 v[26:29], v58 offset:816
	s_waitcnt vmcnt(3) lgkmcnt(3)
	v_mul_f64 v[30:31], v[20:21], v[15:16]
	v_mul_f64 v[15:16], v[18:19], v[15:16]
	s_waitcnt vmcnt(2) lgkmcnt(1)
	v_mul_f64 v[32:33], v[24:25], v[11:12]
	v_mul_f64 v[11:12], v[22:23], v[11:12]
	s_delay_alu instid0(VALU_DEP_4) | instskip(NEXT) | instid1(VALU_DEP_4)
	v_fma_f64 v[30:31], v[18:19], v[13:14], -v[30:31]
	v_fma_f64 v[34:35], v[20:21], v[13:14], v[15:16]
	s_waitcnt vmcnt(1) lgkmcnt(0)
	v_mul_f64 v[15:16], v[28:29], v[7:8]
	v_mul_f64 v[18:19], v[26:27], v[7:8]
	v_fma_f64 v[63:64], v[24:25], v[9:10], v[11:12]
	ds_load_b128 v[11:14], v58 offset:1088
	v_fma_f64 v[61:62], v[22:23], v[9:10], -v[32:33]
	global_load_b128 v[7:10], v17, s[4:5] offset:64
	v_fma_f64 v[65:66], v[26:27], v[5:6], -v[15:16]
	v_fma_f64 v[67:68], v[28:29], v[5:6], v[18:19]
	ds_load_b128 v[18:21], v58 offset:1360
	s_waitcnt vmcnt(1) lgkmcnt(1)
	v_mul_f64 v[5:6], v[13:14], v[3:4]
	v_mul_f64 v[3:4], v[11:12], v[3:4]
	s_delay_alu instid0(VALU_DEP_2) | instskip(NEXT) | instid1(VALU_DEP_2)
	v_fma_f64 v[69:70], v[11:12], v[1:2], -v[5:6]
	v_fma_f64 v[71:72], v[13:14], v[1:2], v[3:4]
	global_load_b128 v[0:3], v17, s[4:5] offset:80
	s_waitcnt vmcnt(1) lgkmcnt(0)
	v_mul_f64 v[4:5], v[20:21], v[9:10]
	v_mul_f64 v[9:10], v[18:19], v[9:10]
	s_delay_alu instid0(VALU_DEP_2) | instskip(NEXT) | instid1(VALU_DEP_2)
	v_fma_f64 v[73:74], v[18:19], v[7:8], -v[4:5]
	v_fma_f64 v[75:76], v[20:21], v[7:8], v[9:10]
	ds_load_b128 v[4:7], v58 offset:1632
	ds_load_b128 v[8:11], v58 offset:1904
	s_waitcnt vmcnt(0) lgkmcnt(1)
	v_mul_f64 v[12:13], v[6:7], v[2:3]
	v_mul_f64 v[2:3], v[4:5], v[2:3]
	s_delay_alu instid0(VALU_DEP_2) | instskip(NEXT) | instid1(VALU_DEP_2)
	v_fma_f64 v[77:78], v[4:5], v[0:1], -v[12:13]
	v_fma_f64 v[79:80], v[6:7], v[0:1], v[2:3]
	s_clause 0x1
	global_load_b128 v[0:3], v17, s[4:5] offset:96
	global_load_b128 v[4:7], v17, s[4:5] offset:112
	s_waitcnt vmcnt(1) lgkmcnt(0)
	v_mul_f64 v[12:13], v[10:11], v[2:3]
	v_mul_f64 v[2:3], v[8:9], v[2:3]
	s_delay_alu instid0(VALU_DEP_2) | instskip(NEXT) | instid1(VALU_DEP_2)
	v_fma_f64 v[81:82], v[8:9], v[0:1], -v[12:13]
	v_fma_f64 v[83:84], v[10:11], v[0:1], v[2:3]
	ds_load_b128 v[0:3], v58 offset:2176
	ds_load_b128 v[8:11], v58 offset:2448
	s_waitcnt vmcnt(0) lgkmcnt(1)
	v_mul_f64 v[12:13], v[2:3], v[6:7]
	s_delay_alu instid0(VALU_DEP_1) | instskip(SKIP_1) | instid1(VALU_DEP_1)
	v_fma_f64 v[85:86], v[0:1], v[4:5], -v[12:13]
	v_mul_f64 v[0:1], v[0:1], v[6:7]
	v_fma_f64 v[87:88], v[2:3], v[4:5], v[0:1]
	s_clause 0x1
	global_load_b128 v[0:3], v17, s[4:5] offset:128
	global_load_b128 v[4:7], v17, s[4:5] offset:144
	s_waitcnt vmcnt(1) lgkmcnt(0)
	v_mul_f64 v[12:13], v[10:11], v[2:3]
	v_mul_f64 v[2:3], v[8:9], v[2:3]
	s_delay_alu instid0(VALU_DEP_2) | instskip(NEXT) | instid1(VALU_DEP_2)
	v_fma_f64 v[89:90], v[8:9], v[0:1], -v[12:13]
	v_fma_f64 v[91:92], v[10:11], v[0:1], v[2:3]
	ds_load_b128 v[0:3], v58 offset:2720
	ds_load_b128 v[8:11], v58 offset:2992
	s_waitcnt vmcnt(0) lgkmcnt(1)
	v_mul_f64 v[12:13], v[2:3], v[6:7]
	v_add_f64 v[182:183], v[85:86], v[89:90]
	v_add_f64 v[186:187], v[87:88], v[91:92]
	s_delay_alu instid0(VALU_DEP_3) | instskip(SKIP_1) | instid1(VALU_DEP_2)
	v_fma_f64 v[93:94], v[0:1], v[4:5], -v[12:13]
	v_mul_f64 v[0:1], v[0:1], v[6:7]
	v_add_f64 v[166:167], v[81:82], v[93:94]
	s_delay_alu instid0(VALU_DEP_2)
	v_fma_f64 v[95:96], v[2:3], v[4:5], v[0:1]
	s_clause 0x1
	global_load_b128 v[0:3], v17, s[4:5] offset:160
	global_load_b128 v[4:7], v17, s[4:5] offset:176
	v_add_f64 v[170:171], v[83:84], v[95:96]
	s_waitcnt vmcnt(1) lgkmcnt(0)
	v_mul_f64 v[12:13], v[10:11], v[2:3]
	v_mul_f64 v[2:3], v[8:9], v[2:3]
	s_delay_alu instid0(VALU_DEP_2) | instskip(NEXT) | instid1(VALU_DEP_2)
	v_fma_f64 v[102:103], v[8:9], v[0:1], -v[12:13]
	v_fma_f64 v[104:105], v[10:11], v[0:1], v[2:3]
	ds_load_b128 v[0:3], v58 offset:3264
	ds_load_b128 v[8:11], v58 offset:3536
	s_waitcnt vmcnt(0) lgkmcnt(1)
	v_mul_f64 v[12:13], v[2:3], v[6:7]
	v_add_f64 v[154:155], v[77:78], v[102:103]
	v_add_f64 v[254:255], v[79:80], -v[104:105]
	v_add_f64 v[158:159], v[79:80], v[104:105]
	s_delay_alu instid0(VALU_DEP_4)
	v_fma_f64 v[108:109], v[0:1], v[4:5], -v[12:13]
	v_mul_f64 v[0:1], v[0:1], v[6:7]
	global_load_b128 v[12:15], v17, s[4:5] offset:224
	v_mul_f64 v[210:211], v[254:255], s[56:57]
	v_mul_f64 v[246:247], v[254:255], s[38:39]
	v_add_f64 v[228:229], v[73:74], -v[108:109]
	v_fma_f64 v[112:113], v[2:3], v[4:5], v[0:1]
	global_load_b128 v[0:3], v17, s[4:5] offset:240
	ds_load_b128 v[4:7], v58 offset:4352
	v_mul_f64 v[128:129], v[228:229], s[60:61]
	v_add_f64 v[226:227], v[75:76], -v[112:113]
	v_add_f64 v[146:147], v[75:76], v[112:113]
	v_mul_f64 v[244:245], v[228:229], s[52:53]
	s_delay_alu instid0(VALU_DEP_3) | instskip(SKIP_3) | instid1(VALU_DEP_2)
	v_mul_f64 v[242:243], v[226:227], s[52:53]
	s_waitcnt vmcnt(0) lgkmcnt(0)
	v_mul_f64 v[18:19], v[4:5], v[2:3]
	v_mul_f64 v[2:3], v[6:7], v[2:3]
	v_fma_f64 v[18:19], v[6:7], v[0:1], v[18:19]
	s_delay_alu instid0(VALU_DEP_2) | instskip(NEXT) | instid1(VALU_DEP_2)
	v_fma_f64 v[54:55], v[4:5], v[0:1], -v[2:3]
	v_mov_b32_e32 v60, v19
	scratch_store_b64 off, v[54:55], off offset:16 ; 8-byte Folded Spill
	s_clause 0x1
	global_load_b128 v[0:3], v17, s[4:5] offset:192
	global_load_b128 v[4:7], v17, s[4:5] offset:208
	v_mov_b32_e32 v59, v18
	s_delay_alu instid0(VALU_DEP_1) | instskip(SKIP_3) | instid1(VALU_DEP_2)
	v_add_f64 v[98:99], v[34:35], v[59:60]
	s_waitcnt vmcnt(1)
	v_mul_f64 v[16:17], v[10:11], v[2:3]
	v_mul_f64 v[2:3], v[8:9], v[2:3]
	v_fma_f64 v[120:121], v[8:9], v[0:1], -v[16:17]
	s_delay_alu instid0(VALU_DEP_2)
	v_fma_f64 v[124:125], v[10:11], v[0:1], v[2:3]
	ds_load_b128 v[0:3], v58 offset:3808
	ds_load_b128 v[8:11], v58 offset:4080
	s_waitcnt vmcnt(0) lgkmcnt(1)
	v_mul_f64 v[16:17], v[2:3], v[6:7]
	v_add_f64 v[224:225], v[69:70], -v[120:121]
	v_add_f64 v[222:223], v[71:72], -v[124:125]
	s_delay_alu instid0(VALU_DEP_3)
	v_fma_f64 v[174:175], v[0:1], v[4:5], -v[16:17]
	v_mul_f64 v[0:1], v[0:1], v[6:7]
	v_add_f64 v[16:17], v[30:31], v[54:55]
	v_mul_f64 v[240:241], v[224:225], s[56:57]
	v_mul_f64 v[238:239], v[222:223], s[56:57]
	v_add_f64 v[192:193], v[65:66], -v[174:175]
	v_fma_f64 v[151:152], v[2:3], v[4:5], v[0:1]
	s_waitcnt lgkmcnt(0)
	v_mul_f64 v[0:1], v[10:11], v[14:15]
	s_delay_alu instid0(VALU_DEP_3) | instskip(NEXT) | instid1(VALU_DEP_3)
	v_mul_f64 v[156:157], v[192:193], s[34:35]
	v_add_f64 v[190:191], v[67:68], -v[151:152]
	s_delay_alu instid0(VALU_DEP_3) | instskip(SKIP_2) | instid1(VALU_DEP_3)
	v_fma_f64 v[148:149], v[8:9], v[12:13], -v[0:1]
	v_mul_f64 v[0:1], v[8:9], v[14:15]
	v_mul_f64 v[236:237], v[192:193], s[62:63]
	v_add_f64 v[180:181], v[61:62], -v[148:149]
	s_delay_alu instid0(VALU_DEP_3) | instskip(SKIP_1) | instid1(VALU_DEP_2)
	v_fma_f64 v[138:139], v[10:11], v[12:13], v[0:1]
	v_add_f64 v[0:1], v[34:35], -v[18:19]
	v_add_f64 v[178:179], v[63:64], -v[138:139]
	s_delay_alu instid0(VALU_DEP_2)
	v_mul_f64 v[4:5], v[0:1], s[44:45]
	v_mul_f64 v[2:3], v[0:1], s[38:39]
	;; [unrolled: 1-line block ×9, first 2 shown]
	v_fma_f64 v[20:21], v[16:17], s[26:27], -v[4:5]
	v_fma_f64 v[22:23], v[16:17], s[26:27], v[4:5]
	v_add_f64 v[4:5], v[30:31], -v[54:55]
	v_fma_f64 v[18:19], v[16:17], s[28:29], -v[2:3]
	v_fma_f64 v[2:3], v[16:17], s[28:29], v[2:3]
	v_fma_f64 v[26:27], v[16:17], s[22:23], -v[8:9]
	v_fma_f64 v[28:29], v[16:17], s[22:23], v[8:9]
	;; [unrolled: 2-line block ×7, first 2 shown]
	v_mul_f64 v[230:231], v[178:179], s[34:35]
	v_add_f64 v[162:163], v[37:38], v[20:21]
	v_mul_f64 v[8:9], v[4:5], s[38:39]
	v_mul_f64 v[10:11], v[4:5], s[44:45]
	;; [unrolled: 1-line block ×8, first 2 shown]
	v_add_f64 v[2:3], v[37:38], v[2:3]
	v_add_f64 v[144:145], v[37:38], v[18:19]
	;; [unrolled: 1-line block ×5, first 2 shown]
	v_mul_f64 v[44:45], v[228:229], s[40:41]
	v_add_f64 v[0:1], v[37:38], v[0:1]
	scratch_store_b64 off, v[59:60], off offset:24 ; 8-byte Folded Spill
	v_fma_f64 v[100:101], v[98:99], s[28:29], v[8:9]
	v_fma_f64 v[8:9], v[98:99], s[28:29], -v[8:9]
	v_fma_f64 v[106:107], v[98:99], s[26:27], v[10:11]
	v_fma_f64 v[10:11], v[98:99], s[26:27], -v[10:11]
	v_fma_f64 v[110:111], v[98:99], s[24:25], v[12:13]
	v_fma_f64 v[114:115], v[98:99], s[24:25], -v[12:13]
	v_fma_f64 v[116:117], v[98:99], s[22:23], v[14:15]
	v_fma_f64 v[118:119], v[98:99], s[22:23], -v[14:15]
	v_fma_f64 v[122:123], v[98:99], s[20:21], v[16:17]
	v_fma_f64 v[130:131], v[98:99], s[20:21], -v[16:17]
	v_fma_f64 v[134:135], v[98:99], s[14:15], v[54:55]
	v_fma_f64 v[54:55], v[98:99], s[14:15], -v[54:55]
	v_fma_f64 v[140:141], v[98:99], s[10:11], v[56:57]
	v_fma_f64 v[56:57], v[98:99], s[10:11], -v[56:57]
	scratch_store_b64 off, v[0:1], off offset:320 ; 8-byte Folded Spill
	v_fma_f64 v[142:143], v[98:99], s[0:1], v[4:5]
	v_fma_f64 v[98:99], v[98:99], s[0:1], -v[4:5]
	v_add_f64 v[4:5], v[37:38], v[30:31]
	scratch_store_b64 off, v[2:3], off      ; 8-byte Folded Spill
	v_add_f64 v[13:14], v[37:38], v[26:27]
	v_add_f64 v[100:101], v[39:40], v[100:101]
	v_add_f64 v[2:3], v[39:40], v[8:9]
	v_add_f64 v[15:16], v[39:40], v[106:107]
	v_add_f64 v[106:107], v[61:62], v[148:149]
	v_add_f64 v[59:60], v[39:40], v[110:111]
	v_add_f64 v[110:111], v[63:64], v[138:139]
	v_mul_f64 v[8:9], v[190:191], s[50:51]
	v_add_f64 v[164:165], v[39:40], v[116:117]
	v_add_f64 v[17:18], v[39:40], v[122:123]
	;; [unrolled: 1-line block ×7, first 2 shown]
	v_mul_f64 v[140:141], v[224:225], s[40:41]
	v_mul_f64 v[116:117], v[226:227], s[60:61]
	v_add_f64 v[0:1], v[39:40], v[98:99]
	scratch_store_b64 off, v[4:5], off offset:64 ; 8-byte Folded Spill
	v_add_f64 v[4:5], v[39:40], v[34:35]
	scratch_store_b64 off, v[2:3], off offset:8 ; 8-byte Folded Spill
	v_add_f64 v[2:3], v[37:38], v[22:23]
	v_add_f64 v[21:22], v[81:82], -v[93:94]
	scratch_store_b64 off, v[2:3], off offset:40 ; 8-byte Folded Spill
	v_add_f64 v[2:3], v[39:40], v[10:11]
	scratch_store_b64 off, v[4:5], off offset:72 ; 8-byte Folded Spill
	v_add_f64 v[11:12], v[37:38], v[24:25]
	v_mul_f64 v[4:5], v[192:193], s[50:51]
	v_mul_f64 v[23:24], v[222:223], s[42:43]
	v_add_f64 v[25:26], v[77:78], -v[102:103]
	v_mul_f64 v[172:173], v[21:22], s[36:37]
	v_mul_f64 v[252:253], v[21:22], s[42:43]
	;; [unrolled: 1-line block ×3, first 2 shown]
	scratch_store_b64 off, v[2:3], off offset:32 ; 8-byte Folded Spill
	v_add_f64 v[2:3], v[37:38], v[6:7]
	v_add_f64 v[6:7], v[85:86], -v[89:90]
	v_mul_f64 v[160:161], v[25:26], s[34:35]
	v_mul_f64 v[212:213], v[25:26], s[56:57]
	;; [unrolled: 1-line block ×3, first 2 shown]
	scratch_store_b64 off, v[2:3], off offset:136 ; 8-byte Folded Spill
	v_add_f64 v[2:3], v[39:40], v[114:115]
	v_mul_f64 v[136:137], v[6:7], s[40:41]
	v_mul_f64 v[114:115], v[180:181], s[34:35]
	;; [unrolled: 1-line block ×3, first 2 shown]
	scratch_store_b64 off, v[2:3], off offset:128 ; 8-byte Folded Spill
	v_add_f64 v[2:3], v[37:38], v[28:29]
	v_mul_f64 v[29:30], v[192:193], s[52:53]
	v_mul_f64 v[27:28], v[222:223], s[50:51]
	scratch_store_b64 off, v[2:3], off offset:168 ; 8-byte Folded Spill
	v_add_f64 v[2:3], v[39:40], v[118:119]
	v_add_f64 v[118:119], v[65:66], v[174:175]
	scratch_store_b64 off, v[2:3], off offset:160 ; 8-byte Folded Spill
	v_add_f64 v[2:3], v[37:38], v[42:43]
	scratch_store_b64 off, v[2:3], off offset:248 ; 8-byte Folded Spill
	v_add_f64 v[2:3], v[39:40], v[130:131]
	v_add_f64 v[130:131], v[69:70], v[120:121]
	scratch_store_b64 off, v[2:3], off offset:240 ; 8-byte Folded Spill
	v_add_f64 v[2:3], v[37:38], v[46:47]
	v_mul_f64 v[46:47], v[25:26], s[54:55]
	scratch_store_b64 off, v[2:3], off offset:392 ; 8-byte Folded Spill
	v_add_f64 v[2:3], v[37:38], v[50:51]
	scratch_store_b64 off, v[2:3], off offset:368 ; 8-byte Folded Spill
	v_add_f64 v[2:3], v[39:40], v[56:57]
	scratch_store_b64 off, v[2:3], off offset:360 ; 8-byte Folded Spill
	v_add_f64 v[2:3], v[37:38], v[52:53]
	v_fma_f64 v[37:38], v[118:119], s[24:25], -v[8:9]
	v_mul_f64 v[52:53], v[6:7], s[34:35]
	scratch_store_b64 off, v[2:3], off offset:336 ; 8-byte Folded Spill
	v_add_f64 v[2:3], v[39:40], v[142:143]
	v_add_f64 v[142:143], v[73:74], v[108:109]
	s_clause 0x2
	scratch_store_b64 off, v[2:3], off offset:328
	scratch_store_b64 off, v[0:1], off offset:312
	scratch_store_b64 off, v[63:64], off offset:88
	v_mul_f64 v[0:1], v[178:179], s[44:45]
	v_mul_f64 v[2:3], v[180:181], s[44:45]
	s_clause 0x3
	scratch_store_b64 off, v[67:68], off offset:120
	scratch_store_b64 off, v[65:66], off offset:112
	;; [unrolled: 1-line block ×4, first 2 shown]
	v_add_f64 v[8:9], v[87:88], -v[91:92]
	v_mul_f64 v[67:68], v[21:22], s[58:59]
	s_clause 0x1
	scratch_store_b64 off, v[0:1], off offset:48
	scratch_store_b64 off, v[2:3], off offset:56
	v_fma_f64 v[0:1], v[106:107], s[26:27], -v[0:1]
	scratch_store_b64 off, v[61:62], off offset:80 ; 8-byte Folded Spill
	v_fma_f64 v[2:3], v[110:111], s[26:27], v[2:3]
	s_clause 0x3
	scratch_store_b64 off, v[71:72], off offset:200
	scratch_store_b64 off, v[124:125], off offset:184
	;; [unrolled: 1-line block ×4, first 2 shown]
	v_mul_f64 v[184:185], v[8:9], s[40:41]
	v_mul_f64 v[120:121], v[180:181], s[42:43]
	;; [unrolled: 1-line block ×3, first 2 shown]
	v_fma_f64 v[33:34], v[170:171], s[14:15], v[67:68]
	v_mul_f64 v[61:62], v[21:22], s[38:39]
	v_mul_f64 v[56:57], v[8:9], s[34:35]
	;; [unrolled: 1-line block ×4, first 2 shown]
	v_add_f64 v[0:1], v[0:1], v[144:145]
	v_mul_f64 v[144:145], v[222:223], s[40:41]
	v_add_f64 v[2:3], v[2:3], v[100:101]
	v_mul_f64 v[99:100], v[8:9], s[52:53]
	s_delay_alu instid0(VALU_DEP_4)
	v_add_f64 v[0:1], v[37:38], v[0:1]
	v_fma_f64 v[37:38], v[122:123], s[24:25], v[4:5]
	v_mul_f64 v[4:5], v[224:225], s[42:43]
	scratch_store_b64 off, v[23:24], off offset:144 ; 8-byte Folded Spill
	v_add_f64 v[2:3], v[37:38], v[2:3]
	scratch_store_b64 off, v[4:5], off offset:152 ; 8-byte Folded Spill
	v_fma_f64 v[37:38], v[130:131], s[22:23], -v[23:24]
	v_mul_f64 v[23:24], v[226:227], s[30:31]
	s_clause 0x3
	scratch_store_b64 off, v[75:76], off offset:264
	scratch_store_b64 off, v[112:113], off offset:232
	;; [unrolled: 1-line block ×4, first 2 shown]
	v_mul_f64 v[112:113], v[190:191], s[34:35]
	v_mul_f64 v[108:109], v[21:22], s[46:47]
	;; [unrolled: 1-line block ×4, first 2 shown]
	v_add_f64 v[0:1], v[37:38], v[0:1]
	v_fma_f64 v[37:38], v[134:135], s[22:23], v[4:5]
	v_mul_f64 v[4:5], v[228:229], s[30:31]
	scratch_store_b64 off, v[23:24], off offset:208 ; 8-byte Folded Spill
	v_add_f64 v[2:3], v[37:38], v[2:3]
	scratch_store_b64 off, v[4:5], off offset:216 ; 8-byte Folded Spill
	v_fma_f64 v[37:38], v[142:143], s[20:21], -v[23:24]
	v_add_f64 v[23:24], v[83:84], -v[95:96]
	s_clause 0x3
	scratch_store_b64 off, v[79:80], off offset:304
	scratch_store_b64 off, v[104:105], off offset:288
	;; [unrolled: 1-line block ×4, first 2 shown]
	v_mul_f64 v[103:104], v[8:9], s[48:49]
	v_mul_f64 v[101:102], v[6:7], s[48:49]
	;; [unrolled: 1-line block ×4, first 2 shown]
	v_add_f64 v[0:1], v[37:38], v[0:1]
	v_fma_f64 v[37:38], v[146:147], s[20:21], v[4:5]
	v_mul_f64 v[168:169], v[23:24], s[36:37]
	v_mul_f64 v[214:215], v[23:24], s[46:47]
	;; [unrolled: 1-line block ×6, first 2 shown]
	v_add_f64 v[37:38], v[37:38], v[2:3]
	v_mul_f64 v[2:3], v[254:255], s[34:35]
	v_fma_f64 v[42:43], v[166:167], s[10:11], -v[168:169]
	scratch_store_b64 off, v[2:3], off offset:272 ; 8-byte Folded Spill
	v_fma_f64 v[2:3], v[154:155], s[14:15], -v[2:3]
	s_clause 0x1
	scratch_store_b64 off, v[83:84], off offset:384
	scratch_store_b64 off, v[95:96], off offset:352
	v_mul_f64 v[95:96], v[190:191], s[62:63]
	s_clause 0x1
	scratch_store_b64 off, v[81:82], off offset:376
	scratch_store_b64 off, v[93:94], off offset:344
	v_mul_f64 v[93:94], v[8:9], s[36:37]
	;; [unrolled: 4-line block ×4, first 2 shown]
	v_mul_f64 v[87:88], v[180:181], s[40:41]
	v_mul_f64 v[85:86], v[190:191], s[56:57]
	;; [unrolled: 1-line block ×5, first 2 shown]
	v_add_f64 v[39:40], v[2:3], v[0:1]
	v_fma_f64 v[0:1], v[158:159], s[14:15], v[160:161]
	v_mul_f64 v[2:3], v[224:225], s[36:37]
	s_delay_alu instid0(VALU_DEP_3) | instskip(NEXT) | instid1(VALU_DEP_3)
	v_add_f64 v[39:40], v[42:43], v[39:40]
	v_add_f64 v[37:38], v[0:1], v[37:38]
	v_fma_f64 v[42:43], v[170:171], s[10:11], v[172:173]
	v_mul_f64 v[0:1], v[228:229], s[54:55]
	s_delay_alu instid0(VALU_DEP_2) | instskip(SKIP_1) | instid1(VALU_DEP_1)
	v_add_f64 v[37:38], v[42:43], v[37:38]
	v_fma_f64 v[42:43], v[182:183], s[0:1], -v[184:185]
	v_add_f64 v[202:203], v[42:43], v[39:40]
	v_fma_f64 v[39:40], v[186:187], s[0:1], v[136:137]
	v_mul_f64 v[42:43], v[254:255], s[54:55]
	s_delay_alu instid0(VALU_DEP_2) | instskip(SKIP_2) | instid1(VALU_DEP_2)
	v_add_f64 v[204:205], v[39:40], v[37:38]
	v_fma_f64 v[37:38], v[106:107], s[22:23], -v[132:133]
	v_fma_f64 v[39:40], v[110:111], s[22:23], v[120:121]
	v_add_f64 v[37:38], v[37:38], v[162:163]
	s_delay_alu instid0(VALU_DEP_2) | instskip(SKIP_2) | instid1(VALU_DEP_2)
	v_add_f64 v[15:16], v[39:40], v[15:16]
	v_fma_f64 v[39:40], v[118:119], s[14:15], -v[112:113]
	v_fma_f64 v[162:163], v[158:159], s[10:11], v[71:72]
	v_add_f64 v[37:38], v[39:40], v[37:38]
	v_fma_f64 v[39:40], v[122:123], s[14:15], v[156:157]
	s_delay_alu instid0(VALU_DEP_1) | instskip(SKIP_1) | instid1(VALU_DEP_1)
	v_add_f64 v[15:16], v[39:40], v[15:16]
	v_fma_f64 v[39:40], v[130:131], s[0:1], -v[144:145]
	v_add_f64 v[37:38], v[39:40], v[37:38]
	v_fma_f64 v[39:40], v[134:135], s[0:1], v[140:141]
	s_delay_alu instid0(VALU_DEP_1) | instskip(SKIP_1) | instid1(VALU_DEP_1)
	v_add_f64 v[15:16], v[39:40], v[15:16]
	v_fma_f64 v[39:40], v[142:143], s[10:11], -v[116:117]
	;; [unrolled: 5-line block ×5, first 2 shown]
	v_add_f64 v[206:207], v[39:40], v[37:38]
	v_fma_f64 v[37:38], v[186:187], s[28:29], v[101:102]
	v_mul_f64 v[40:41], v[25:26], s[44:45]
	s_delay_alu instid0(VALU_DEP_2) | instskip(SKIP_2) | instid1(VALU_DEP_2)
	v_add_f64 v[208:209], v[37:38], v[15:16]
	v_fma_f64 v[15:16], v[106:107], s[14:15], -v[230:231]
	v_fma_f64 v[37:38], v[118:119], s[0:1], -v[95:96]
	v_add_f64 v[10:11], v[15:16], v[11:12]
	v_fma_f64 v[15:16], v[110:111], s[14:15], v[114:115]
	s_delay_alu instid0(VALU_DEP_2) | instskip(NEXT) | instid1(VALU_DEP_2)
	v_add_f64 v[10:11], v[37:38], v[10:11]
	v_add_f64 v[15:16], v[15:16], v[59:60]
	v_fma_f64 v[37:38], v[122:123], s[0:1], v[236:237]
	s_delay_alu instid0(VALU_DEP_1) | instskip(SKIP_1) | instid1(VALU_DEP_1)
	v_add_f64 v[15:16], v[37:38], v[15:16]
	v_fma_f64 v[37:38], v[130:131], s[20:21], -v[238:239]
	v_add_f64 v[10:11], v[37:38], v[10:11]
	v_fma_f64 v[37:38], v[134:135], s[20:21], v[240:241]
	s_delay_alu instid0(VALU_DEP_1) | instskip(SKIP_1) | instid1(VALU_DEP_1)
	v_add_f64 v[15:16], v[37:38], v[15:16]
	v_fma_f64 v[37:38], v[142:143], s[26:27], -v[242:243]
	;; [unrolled: 5-line block ×5, first 2 shown]
	v_add_f64 v[232:233], v[37:38], v[10:11]
	v_fma_f64 v[10:11], v[186:187], s[10:11], v[91:92]
	v_mul_f64 v[38:39], v[224:225], s[50:51]
	v_mul_f64 v[36:37], v[226:227], s[40:41]
	s_delay_alu instid0(VALU_DEP_3) | instskip(SKIP_1) | instid1(VALU_DEP_1)
	v_add_f64 v[234:235], v[10:11], v[15:16]
	v_fma_f64 v[10:11], v[106:107], s[0:1], -v[89:90]
	v_add_f64 v[10:11], v[10:11], v[13:14]
	v_fma_f64 v[12:13], v[110:111], s[0:1], v[87:88]
	v_fma_f64 v[14:15], v[118:119], s[20:21], -v[85:86]
	s_delay_alu instid0(VALU_DEP_2) | instskip(NEXT) | instid1(VALU_DEP_2)
	v_add_f64 v[12:13], v[12:13], v[164:165]
	v_add_f64 v[10:11], v[14:15], v[10:11]
	v_fma_f64 v[14:15], v[122:123], s[20:21], v[83:84]
	v_fma_f64 v[164:165], v[166:167], s[14:15], -v[69:70]
	s_delay_alu instid0(VALU_DEP_2) | instskip(SKIP_1) | instid1(VALU_DEP_1)
	v_add_f64 v[12:13], v[14:15], v[12:13]
	v_fma_f64 v[14:15], v[130:131], s[28:29], -v[81:82]
	v_add_f64 v[10:11], v[14:15], v[10:11]
	v_fma_f64 v[14:15], v[134:135], s[28:29], v[79:80]
	s_delay_alu instid0(VALU_DEP_1) | instskip(SKIP_1) | instid1(VALU_DEP_1)
	v_add_f64 v[12:13], v[14:15], v[12:13]
	v_fma_f64 v[14:15], v[142:143], s[24:25], -v[77:78]
	v_add_f64 v[10:11], v[14:15], v[10:11]
	v_fma_f64 v[14:15], v[146:147], s[24:25], v[75:76]
	s_delay_alu instid0(VALU_DEP_1) | instskip(SKIP_1) | instid1(VALU_DEP_2)
	v_add_f64 v[12:13], v[14:15], v[12:13]
	v_fma_f64 v[14:15], v[154:155], s[10:11], -v[73:74]
	v_add_f64 v[162:163], v[162:163], v[12:13]
	s_delay_alu instid0(VALU_DEP_2) | instskip(SKIP_2) | instid1(VALU_DEP_4)
	v_add_f64 v[10:11], v[14:15], v[10:11]
	v_mul_f64 v[14:15], v[180:181], s[60:61]
	v_mul_f64 v[12:13], v[190:191], s[52:53]
	v_add_f64 v[33:34], v[33:34], v[162:163]
	s_delay_alu instid0(VALU_DEP_4) | instskip(SKIP_2) | instid1(VALU_DEP_2)
	v_add_f64 v[164:165], v[164:165], v[10:11]
	v_fma_f64 v[162:163], v[182:183], s[26:27], -v[99:100]
	v_mul_f64 v[10:11], v[178:179], s[60:61]
	v_add_f64 v[162:163], v[162:163], v[164:165]
	v_fma_f64 v[164:165], v[186:187], s[26:27], v[97:98]
	s_delay_alu instid0(VALU_DEP_1) | instskip(NEXT) | instid1(VALU_DEP_4)
	v_add_f64 v[164:165], v[164:165], v[33:34]
	v_fma_f64 v[33:34], v[106:107], s[10:11], -v[10:11]
	s_delay_alu instid0(VALU_DEP_1) | instskip(SKIP_1) | instid1(VALU_DEP_1)
	v_add_f64 v[19:20], v[33:34], v[19:20]
	v_fma_f64 v[33:34], v[110:111], s[10:11], v[14:15]
	v_add_f64 v[16:17], v[33:34], v[17:18]
	v_fma_f64 v[33:34], v[118:119], s[26:27], -v[12:13]
	s_delay_alu instid0(VALU_DEP_1) | instskip(SKIP_1) | instid1(VALU_DEP_1)
	v_add_f64 v[18:19], v[33:34], v[19:20]
	v_fma_f64 v[33:34], v[122:123], s[26:27], v[29:30]
	;; [unrolled: 5-line block ×6, first 2 shown]
	v_add_f64 v[16:17], v[32:33], v[16:17]
	v_fma_f64 v[32:33], v[182:183], s[14:15], -v[56:57]
	s_delay_alu instid0(VALU_DEP_1) | instskip(SKIP_2) | instid1(VALU_DEP_2)
	v_add_f64 v[194:195], v[32:33], v[18:19]
	v_fma_f64 v[18:19], v[186:187], s[14:15], v[52:53]
	v_mul_f64 v[32:33], v[180:181], s[56:57]
	v_add_f64 v[196:197], v[18:19], v[16:17]
	v_mul_f64 v[16:17], v[178:179], s[56:57]
	s_delay_alu instid0(VALU_DEP_3) | instskip(SKIP_1) | instid1(VALU_DEP_3)
	v_fma_f64 v[50:51], v[110:111], s[20:21], v[32:33]
	v_fma_f64 v[31:32], v[110:111], s[20:21], -v[32:33]
	v_fma_f64 v[18:19], v[106:107], s[20:21], -v[16:17]
	s_delay_alu instid0(VALU_DEP_3)
	v_add_f64 v[34:35], v[50:51], v[200:201]
	v_mul_f64 v[200:201], v[190:191], s[38:39]
	v_fma_f64 v[16:17], v[106:107], s[20:21], v[16:17]
	v_add_f64 v[31:32], v[31:32], v[198:199]
	v_add_f64 v[18:19], v[18:19], v[188:189]
	v_mul_f64 v[188:189], v[23:24], s[40:41]
	v_fma_f64 v[50:51], v[118:119], s[28:29], -v[200:201]
	s_delay_alu instid0(VALU_DEP_1) | instskip(SKIP_2) | instid1(VALU_DEP_2)
	v_add_f64 v[18:19], v[50:51], v[18:19]
	v_fma_f64 v[50:51], v[122:123], s[28:29], v[4:5]
	v_fma_f64 v[4:5], v[122:123], s[28:29], -v[4:5]
	v_add_f64 v[34:35], v[50:51], v[34:35]
	v_mul_f64 v[50:51], v[222:223], s[36:37]
	s_delay_alu instid0(VALU_DEP_3) | instskip(NEXT) | instid1(VALU_DEP_2)
	v_add_f64 v[4:5], v[4:5], v[31:32]
	v_fma_f64 v[54:55], v[130:131], s[10:11], -v[50:51]
	v_fma_f64 v[31:32], v[130:131], s[10:11], v[50:51]
	v_mul_f64 v[50:51], v[224:225], s[58:59]
	s_delay_alu instid0(VALU_DEP_3) | instskip(SKIP_2) | instid1(VALU_DEP_2)
	v_add_f64 v[18:19], v[54:55], v[18:19]
	v_fma_f64 v[54:55], v[134:135], s[10:11], v[2:3]
	v_fma_f64 v[2:3], v[134:135], s[10:11], -v[2:3]
	v_add_f64 v[34:35], v[54:55], v[34:35]
	v_mul_f64 v[54:55], v[226:227], s[54:55]
	s_delay_alu instid0(VALU_DEP_3) | instskip(NEXT) | instid1(VALU_DEP_2)
	v_add_f64 v[2:3], v[2:3], v[4:5]
	v_fma_f64 v[59:60], v[142:143], s[22:23], -v[54:55]
	v_fma_f64 v[4:5], v[142:143], s[22:23], v[54:55]
	v_mul_f64 v[54:55], v[226:227], s[38:39]
	s_delay_alu instid0(VALU_DEP_3) | instskip(SKIP_2) | instid1(VALU_DEP_2)
	v_add_f64 v[18:19], v[59:60], v[18:19]
	v_fma_f64 v[59:60], v[146:147], s[22:23], v[0:1]
	v_fma_f64 v[0:1], v[146:147], s[22:23], -v[0:1]
	v_add_f64 v[34:35], v[59:60], v[34:35]
	v_mul_f64 v[59:60], v[254:255], s[44:45]
	s_delay_alu instid0(VALU_DEP_3) | instskip(NEXT) | instid1(VALU_DEP_2)
	v_add_f64 v[0:1], v[0:1], v[2:3]
	v_fma_f64 v[63:64], v[154:155], s[26:27], -v[59:60]
	v_fma_f64 v[2:3], v[154:155], s[26:27], v[59:60]
	v_mul_f64 v[59:60], v[228:229], s[38:39]
	s_delay_alu instid0(VALU_DEP_3) | instskip(SKIP_1) | instid1(VALU_DEP_1)
	v_add_f64 v[18:19], v[63:64], v[18:19]
	v_fma_f64 v[63:64], v[158:159], s[26:27], v[40:41]
	v_add_f64 v[34:35], v[63:64], v[34:35]
	v_fma_f64 v[63:64], v[166:167], s[0:1], -v[188:189]
	s_delay_alu instid0(VALU_DEP_1) | instskip(SKIP_1) | instid1(VALU_DEP_1)
	v_add_f64 v[18:19], v[63:64], v[18:19]
	v_fma_f64 v[63:64], v[170:171], s[0:1], v[220:221]
	v_add_f64 v[34:35], v[63:64], v[34:35]
	v_fma_f64 v[63:64], v[182:183], s[24:25], -v[218:219]
	s_delay_alu instid0(VALU_DEP_1) | instskip(SKIP_1) | instid1(VALU_DEP_1)
	v_add_f64 v[63:64], v[63:64], v[18:19]
	v_mul_f64 v[18:19], v[6:7], s[46:47]
	v_fma_f64 v[65:66], v[186:187], s[24:25], v[18:19]
	s_delay_alu instid0(VALU_DEP_1) | instskip(SKIP_4) | instid1(VALU_DEP_1)
	v_add_f64 v[65:66], v[65:66], v[34:35]
	scratch_load_b64 v[34:35], off, off offset:392 ; 8-byte Folded Reload
	s_waitcnt vmcnt(0)
	v_add_f64 v[16:17], v[16:17], v[34:35]
	v_fma_f64 v[33:34], v[118:119], s[28:29], v[200:201]
	v_add_f64 v[16:17], v[33:34], v[16:17]
	v_mul_f64 v[33:34], v[192:193], s[42:43]
	s_delay_alu instid0(VALU_DEP_2) | instskip(SKIP_1) | instid1(VALU_DEP_2)
	v_add_f64 v[16:17], v[31:32], v[16:17]
	v_mul_f64 v[31:32], v[190:191], s[42:43]
	v_add_f64 v[4:5], v[4:5], v[16:17]
	v_fma_f64 v[16:17], v[186:187], s[24:25], -v[18:19]
	s_delay_alu instid0(VALU_DEP_3) | instskip(SKIP_1) | instid1(VALU_DEP_4)
	v_fma_f64 v[18:19], v[118:119], s[22:23], -v[31:32]
	v_fma_f64 v[31:32], v[118:119], s[22:23], v[31:32]
	v_add_f64 v[2:3], v[2:3], v[4:5]
	v_fma_f64 v[4:5], v[158:159], s[26:27], -v[40:41]
	v_mul_f64 v[40:41], v[222:223], s[58:59]
	s_delay_alu instid0(VALU_DEP_2) | instskip(SKIP_2) | instid1(VALU_DEP_2)
	v_add_f64 v[0:1], v[4:5], v[0:1]
	v_fma_f64 v[4:5], v[166:167], s[0:1], v[188:189]
	v_mul_f64 v[188:189], v[254:255], s[40:41]
	v_add_f64 v[2:3], v[4:5], v[2:3]
	v_fma_f64 v[4:5], v[170:171], s[0:1], -v[220:221]
	v_mul_f64 v[220:221], v[23:24], s[52:53]
	v_mul_f64 v[23:24], v[23:24], s[30:31]
	s_delay_alu instid0(VALU_DEP_3) | instskip(SKIP_3) | instid1(VALU_DEP_4)
	v_add_f64 v[0:1], v[4:5], v[0:1]
	v_fma_f64 v[4:5], v[182:183], s[24:25], v[218:219]
	v_mul_f64 v[218:219], v[25:26], s[40:41]
	v_mul_f64 v[25:26], v[25:26], s[46:47]
	v_add_f64 v[200:201], v[16:17], v[0:1]
	v_mul_f64 v[0:1], v[178:179], s[46:47]
	v_add_f64 v[198:199], v[4:5], v[2:3]
	v_mul_f64 v[4:5], v[180:181], s[46:47]
	s_delay_alu instid0(VALU_DEP_3) | instskip(SKIP_1) | instid1(VALU_DEP_3)
	v_fma_f64 v[2:3], v[106:107], s[24:25], -v[0:1]
	v_fma_f64 v[0:1], v[106:107], s[24:25], v[0:1]
	v_fma_f64 v[16:17], v[110:111], s[24:25], v[4:5]
	v_fma_f64 v[4:5], v[110:111], s[24:25], -v[4:5]
	s_delay_alu instid0(VALU_DEP_4) | instskip(SKIP_1) | instid1(VALU_DEP_4)
	v_add_f64 v[2:3], v[2:3], v[216:217]
	v_mul_f64 v[216:217], v[21:22], s[52:53]
	v_add_f64 v[16:17], v[16:17], v[176:177]
	v_mul_f64 v[20:21], v[21:22], s[30:31]
	s_delay_alu instid0(VALU_DEP_4) | instskip(SKIP_1) | instid1(VALU_DEP_1)
	v_add_f64 v[2:3], v[18:19], v[2:3]
	v_fma_f64 v[18:19], v[122:123], s[22:23], v[33:34]
	v_add_f64 v[16:17], v[18:19], v[16:17]
	v_fma_f64 v[18:19], v[130:131], s[14:15], -v[40:41]
	s_delay_alu instid0(VALU_DEP_1) | instskip(SKIP_1) | instid1(VALU_DEP_1)
	v_add_f64 v[2:3], v[18:19], v[2:3]
	v_fma_f64 v[18:19], v[134:135], s[14:15], v[50:51]
	v_add_f64 v[16:17], v[18:19], v[16:17]
	v_fma_f64 v[18:19], v[142:143], s[28:29], -v[54:55]
	s_delay_alu instid0(VALU_DEP_1) | instskip(SKIP_1) | instid1(VALU_DEP_1)
	;; [unrolled: 5-line block ×4, first 2 shown]
	v_add_f64 v[2:3], v[18:19], v[2:3]
	v_fma_f64 v[18:19], v[170:171], s[26:27], v[216:217]
	v_add_f64 v[18:19], v[18:19], v[16:17]
	v_fma_f64 v[16:17], v[182:183], s[20:21], -v[124:125]
	s_delay_alu instid0(VALU_DEP_1) | instskip(SKIP_2) | instid1(VALU_DEP_2)
	v_add_f64 v[16:17], v[16:17], v[2:3]
	v_mul_f64 v[2:3], v[6:7], s[30:31]
	v_mul_f64 v[6:7], v[6:7], s[54:55]
	v_fma_f64 v[176:177], v[186:187], s[20:21], v[2:3]
	v_fma_f64 v[2:3], v[186:187], s[20:21], -v[2:3]
	s_delay_alu instid0(VALU_DEP_2)
	v_add_f64 v[18:19], v[176:177], v[18:19]
	scratch_load_b64 v[176:177], off, off offset:368 ; 8-byte Folded Reload
	s_waitcnt vmcnt(0)
	v_add_f64 v[0:1], v[0:1], v[176:177]
	scratch_load_b64 v[176:177], off, off offset:360 ; 8-byte Folded Reload
	v_add_f64 v[0:1], v[31:32], v[0:1]
	v_fma_f64 v[31:32], v[122:123], s[22:23], -v[33:34]
	s_waitcnt vmcnt(0)
	v_add_f64 v[4:5], v[4:5], v[176:177]
	s_delay_alu instid0(VALU_DEP_1) | instskip(SKIP_2) | instid1(VALU_DEP_2)
	v_add_f64 v[4:5], v[31:32], v[4:5]
	v_fma_f64 v[31:32], v[130:131], s[14:15], v[40:41]
	v_mul_f64 v[40:41], v[180:181], s[48:49]
	v_add_f64 v[0:1], v[31:32], v[0:1]
	v_fma_f64 v[31:32], v[134:135], s[14:15], -v[50:51]
	scratch_load_b64 v[50:51], off, off offset:328 ; 8-byte Folded Reload
	v_add_f64 v[4:5], v[31:32], v[4:5]
	v_fma_f64 v[31:32], v[142:143], s[28:29], v[54:55]
	s_delay_alu instid0(VALU_DEP_1) | instskip(SKIP_1) | instid1(VALU_DEP_1)
	v_add_f64 v[0:1], v[31:32], v[0:1]
	v_fma_f64 v[31:32], v[146:147], s[28:29], -v[59:60]
	v_add_f64 v[4:5], v[31:32], v[4:5]
	v_fma_f64 v[31:32], v[154:155], s[0:1], v[188:189]
	s_delay_alu instid0(VALU_DEP_1) | instskip(SKIP_1) | instid1(VALU_DEP_1)
	v_add_f64 v[0:1], v[31:32], v[0:1]
	v_fma_f64 v[31:32], v[158:159], s[0:1], -v[218:219]
	;; [unrolled: 5-line block ×3, first 2 shown]
	v_add_f64 v[4:5], v[31:32], v[4:5]
	v_fma_f64 v[31:32], v[182:183], s[20:21], v[124:125]
	s_delay_alu instid0(VALU_DEP_2) | instskip(SKIP_3) | instid1(VALU_DEP_2)
	v_add_f64 v[33:34], v[2:3], v[4:5]
	scratch_load_b64 v[2:3], off, off offset:336 ; 8-byte Folded Reload
	v_mul_f64 v[4:5], v[178:179], s[48:49]
	v_add_f64 v[31:32], v[31:32], v[0:1]
	v_fma_f64 v[0:1], v[106:107], s[28:29], -v[4:5]
	v_fma_f64 v[4:5], v[106:107], s[28:29], v[4:5]
	s_waitcnt vmcnt(0)
	s_delay_alu instid0(VALU_DEP_2) | instskip(SKIP_2) | instid1(VALU_DEP_2)
	v_add_f64 v[0:1], v[0:1], v[2:3]
	v_fma_f64 v[2:3], v[110:111], s[28:29], v[40:41]
	v_fma_f64 v[40:41], v[110:111], s[28:29], -v[40:41]
	v_add_f64 v[2:3], v[2:3], v[50:51]
	v_mul_f64 v[50:51], v[190:191], s[36:37]
	s_delay_alu instid0(VALU_DEP_1) | instskip(SKIP_1) | instid1(VALU_DEP_2)
	v_fma_f64 v[54:55], v[118:119], s[10:11], -v[50:51]
	v_fma_f64 v[50:51], v[118:119], s[10:11], v[50:51]
	v_add_f64 v[0:1], v[54:55], v[0:1]
	v_mul_f64 v[54:55], v[192:193], s[36:37]
	s_delay_alu instid0(VALU_DEP_1) | instskip(NEXT) | instid1(VALU_DEP_1)
	v_fma_f64 v[59:60], v[122:123], s[10:11], v[54:55]
	v_add_f64 v[2:3], v[59:60], v[2:3]
	v_mul_f64 v[59:60], v[222:223], s[52:53]
	s_delay_alu instid0(VALU_DEP_1) | instskip(NEXT) | instid1(VALU_DEP_1)
	v_fma_f64 v[124:125], v[130:131], s[26:27], -v[59:60]
	v_add_f64 v[0:1], v[124:125], v[0:1]
	v_mul_f64 v[124:125], v[224:225], s[52:53]
	s_delay_alu instid0(VALU_DEP_1) | instskip(NEXT) | instid1(VALU_DEP_1)
	v_fma_f64 v[176:177], v[134:135], s[26:27], v[124:125]
	v_add_f64 v[2:3], v[176:177], v[2:3]
	v_mul_f64 v[176:177], v[226:227], s[34:35]
	s_delay_alu instid0(VALU_DEP_1) | instskip(NEXT) | instid1(VALU_DEP_1)
	v_fma_f64 v[178:179], v[142:143], s[14:15], -v[176:177]
	v_add_f64 v[0:1], v[178:179], v[0:1]
	v_mul_f64 v[178:179], v[228:229], s[34:35]
	s_delay_alu instid0(VALU_DEP_1) | instskip(NEXT) | instid1(VALU_DEP_1)
	v_fma_f64 v[180:181], v[146:147], s[14:15], v[178:179]
	v_add_f64 v[2:3], v[180:181], v[2:3]
	v_mul_f64 v[180:181], v[254:255], s[46:47]
	s_delay_alu instid0(VALU_DEP_1) | instskip(NEXT) | instid1(VALU_DEP_1)
	v_fma_f64 v[188:189], v[154:155], s[24:25], -v[180:181]
	v_add_f64 v[0:1], v[188:189], v[0:1]
	v_fma_f64 v[188:189], v[158:159], s[24:25], v[25:26]
	v_fma_f64 v[25:26], v[158:159], s[24:25], -v[25:26]
	s_delay_alu instid0(VALU_DEP_2) | instskip(SKIP_2) | instid1(VALU_DEP_2)
	v_add_f64 v[2:3], v[188:189], v[2:3]
	v_fma_f64 v[188:189], v[166:167], s[20:21], -v[23:24]
	v_fma_f64 v[22:23], v[166:167], s[20:21], v[23:24]
	v_add_f64 v[0:1], v[188:189], v[0:1]
	v_fma_f64 v[188:189], v[170:171], s[20:21], v[20:21]
	v_fma_f64 v[20:21], v[170:171], s[20:21], -v[20:21]
	s_delay_alu instid0(VALU_DEP_2) | instskip(SKIP_2) | instid1(VALU_DEP_2)
	v_add_f64 v[2:3], v[188:189], v[2:3]
	v_fma_f64 v[188:189], v[182:183], s[22:23], -v[8:9]
	v_fma_f64 v[8:9], v[182:183], s[22:23], v[8:9]
	v_add_f64 v[0:1], v[188:189], v[0:1]
	v_fma_f64 v[188:189], v[186:187], s[22:23], v[6:7]
	v_fma_f64 v[6:7], v[186:187], s[22:23], -v[6:7]
	s_delay_alu instid0(VALU_DEP_2)
	v_add_f64 v[2:3], v[188:189], v[2:3]
	scratch_load_b64 v[188:189], off, off offset:320 ; 8-byte Folded Reload
	s_waitcnt vmcnt(0)
	v_add_f64 v[4:5], v[4:5], v[188:189]
	scratch_load_b64 v[188:189], off, off offset:312 ; 8-byte Folded Reload
	v_add_f64 v[4:5], v[50:51], v[4:5]
	v_fma_f64 v[50:51], v[122:123], s[10:11], -v[54:55]
	s_waitcnt vmcnt(0)
	v_add_f64 v[40:41], v[40:41], v[188:189]
	s_delay_alu instid0(VALU_DEP_1) | instskip(SKIP_1) | instid1(VALU_DEP_1)
	v_add_f64 v[40:41], v[50:51], v[40:41]
	v_fma_f64 v[50:51], v[130:131], s[26:27], v[59:60]
	v_add_f64 v[4:5], v[50:51], v[4:5]
	v_fma_f64 v[50:51], v[134:135], s[26:27], -v[124:125]
	s_delay_alu instid0(VALU_DEP_1) | instskip(SKIP_1) | instid1(VALU_DEP_1)
	v_add_f64 v[40:41], v[50:51], v[40:41]
	v_fma_f64 v[50:51], v[142:143], s[14:15], v[176:177]
	v_add_f64 v[4:5], v[50:51], v[4:5]
	v_fma_f64 v[50:51], v[146:147], s[14:15], -v[178:179]
	s_delay_alu instid0(VALU_DEP_1) | instskip(SKIP_1) | instid1(VALU_DEP_2)
	v_add_f64 v[40:41], v[50:51], v[40:41]
	v_fma_f64 v[50:51], v[154:155], s[24:25], v[180:181]
	v_add_f64 v[25:26], v[25:26], v[40:41]
	s_delay_alu instid0(VALU_DEP_2) | instskip(NEXT) | instid1(VALU_DEP_2)
	v_add_f64 v[4:5], v[50:51], v[4:5]
	v_add_f64 v[20:21], v[20:21], v[25:26]
	s_delay_alu instid0(VALU_DEP_2) | instskip(NEXT) | instid1(VALU_DEP_2)
	v_add_f64 v[4:5], v[22:23], v[4:5]
	v_add_f64 v[180:181], v[6:7], v[20:21]
	scratch_load_b64 v[6:7], off, off offset:248 ; 8-byte Folded Reload
	v_add_f64 v[178:179], v[8:9], v[4:5]
	scratch_load_b64 v[8:9], off, off offset:240 ; 8-byte Folded Reload
	v_fma_f64 v[4:5], v[106:107], s[10:11], v[10:11]
	v_fma_f64 v[10:11], v[186:187], s[14:15], -v[52:53]
	s_waitcnt vmcnt(1)
	s_delay_alu instid0(VALU_DEP_2) | instskip(SKIP_3) | instid1(VALU_DEP_2)
	v_add_f64 v[4:5], v[4:5], v[6:7]
	v_fma_f64 v[6:7], v[110:111], s[10:11], -v[14:15]
	v_fma_f64 v[14:15], v[186:187], s[10:11], -v[91:92]
	s_waitcnt vmcnt(0)
	v_add_f64 v[6:7], v[6:7], v[8:9]
	v_fma_f64 v[8:9], v[118:119], s[26:27], v[12:13]
	scratch_load_b64 v[12:13], off, off offset:128 ; 8-byte Folded Reload
	v_add_f64 v[4:5], v[8:9], v[4:5]
	v_fma_f64 v[8:9], v[122:123], s[26:27], -v[29:30]
	s_delay_alu instid0(VALU_DEP_1) | instskip(SKIP_2) | instid1(VALU_DEP_2)
	v_add_f64 v[6:7], v[8:9], v[6:7]
	v_fma_f64 v[8:9], v[130:131], s[24:25], v[27:28]
	v_fma_f64 v[26:27], v[186:187], s[28:29], -v[101:102]
	v_add_f64 v[4:5], v[8:9], v[4:5]
	v_fma_f64 v[8:9], v[134:135], s[24:25], -v[38:39]
	s_delay_alu instid0(VALU_DEP_1) | instskip(SKIP_1) | instid1(VALU_DEP_1)
	v_add_f64 v[6:7], v[8:9], v[6:7]
	v_fma_f64 v[8:9], v[142:143], s[0:1], v[36:37]
	v_add_f64 v[4:5], v[8:9], v[4:5]
	v_fma_f64 v[8:9], v[146:147], s[0:1], -v[44:45]
	s_delay_alu instid0(VALU_DEP_1) | instskip(SKIP_1) | instid1(VALU_DEP_1)
	v_add_f64 v[6:7], v[8:9], v[6:7]
	v_fma_f64 v[8:9], v[154:155], s[22:23], v[42:43]
	;; [unrolled: 5-line block ×3, first 2 shown]
	v_add_f64 v[4:5], v[8:9], v[4:5]
	v_fma_f64 v[8:9], v[170:171], s[28:29], -v[61:62]
	s_delay_alu instid0(VALU_DEP_1) | instskip(SKIP_1) | instid1(VALU_DEP_2)
	v_add_f64 v[6:7], v[8:9], v[6:7]
	v_fma_f64 v[8:9], v[182:183], s[14:15], v[56:57]
	v_add_f64 v[192:193], v[10:11], v[6:7]
	scratch_load_b64 v[6:7], off, off offset:168 ; 8-byte Folded Reload
	v_add_f64 v[190:191], v[8:9], v[4:5]
	scratch_load_b64 v[8:9], off, off offset:160 ; 8-byte Folded Reload
	v_fma_f64 v[4:5], v[106:107], s[0:1], v[89:90]
	v_fma_f64 v[10:11], v[186:187], s[26:27], -v[97:98]
	s_waitcnt vmcnt(1)
	s_delay_alu instid0(VALU_DEP_2) | instskip(SKIP_2) | instid1(VALU_DEP_1)
	v_add_f64 v[4:5], v[4:5], v[6:7]
	v_fma_f64 v[6:7], v[110:111], s[0:1], -v[87:88]
	s_waitcnt vmcnt(0)
	v_add_f64 v[6:7], v[6:7], v[8:9]
	v_fma_f64 v[8:9], v[118:119], s[20:21], v[85:86]
	s_delay_alu instid0(VALU_DEP_1) | instskip(SKIP_1) | instid1(VALU_DEP_1)
	v_add_f64 v[4:5], v[8:9], v[4:5]
	v_fma_f64 v[8:9], v[122:123], s[20:21], -v[83:84]
	v_add_f64 v[6:7], v[8:9], v[6:7]
	v_fma_f64 v[8:9], v[130:131], s[28:29], v[81:82]
	s_delay_alu instid0(VALU_DEP_1) | instskip(SKIP_1) | instid1(VALU_DEP_1)
	v_add_f64 v[4:5], v[8:9], v[4:5]
	v_fma_f64 v[8:9], v[134:135], s[28:29], -v[79:80]
	;; [unrolled: 5-line block ×5, first 2 shown]
	v_add_f64 v[6:7], v[8:9], v[6:7]
	v_fma_f64 v[8:9], v[182:183], s[26:27], v[99:100]
	s_delay_alu instid0(VALU_DEP_2) | instskip(SKIP_4) | instid1(VALU_DEP_1)
	v_add_f64 v[6:7], v[10:11], v[6:7]
	scratch_load_b64 v[10:11], off, off offset:136 ; 8-byte Folded Reload
	v_add_f64 v[4:5], v[8:9], v[4:5]
	v_fma_f64 v[8:9], v[106:107], s[14:15], v[230:231]
	s_waitcnt vmcnt(0)
	v_add_f64 v[8:9], v[8:9], v[10:11]
	v_fma_f64 v[10:11], v[110:111], s[14:15], -v[114:115]
	s_delay_alu instid0(VALU_DEP_1) | instskip(SKIP_1) | instid1(VALU_DEP_1)
	v_add_f64 v[10:11], v[10:11], v[12:13]
	v_fma_f64 v[12:13], v[118:119], s[0:1], v[95:96]
	v_add_f64 v[8:9], v[12:13], v[8:9]
	v_fma_f64 v[12:13], v[122:123], s[0:1], -v[236:237]
	s_delay_alu instid0(VALU_DEP_1) | instskip(SKIP_1) | instid1(VALU_DEP_1)
	v_add_f64 v[10:11], v[12:13], v[10:11]
	v_fma_f64 v[12:13], v[130:131], s[20:21], v[238:239]
	;; [unrolled: 5-line block ×5, first 2 shown]
	v_add_f64 v[8:9], v[12:13], v[8:9]
	v_fma_f64 v[12:13], v[170:171], s[22:23], -v[252:253]
	s_delay_alu instid0(VALU_DEP_1) | instskip(SKIP_1) | instid1(VALU_DEP_2)
	v_add_f64 v[10:11], v[12:13], v[10:11]
	v_fma_f64 v[12:13], v[182:183], s[10:11], v[93:94]
	v_add_f64 v[10:11], v[14:15], v[10:11]
	s_delay_alu instid0(VALU_DEP_2)
	v_add_f64 v[8:9], v[12:13], v[8:9]
	s_clause 0x1
	scratch_load_b64 v[12:13], off, off offset:64
	scratch_load_b64 v[14:15], off, off offset:80
	s_waitcnt vmcnt(0)
	v_add_f64 v[12:13], v[12:13], v[14:15]
	s_clause 0x5
	scratch_load_b64 v[14:15], off, off offset:72
	scratch_load_b64 v[20:21], off, off offset:88
	;; [unrolled: 1-line block ×4, first 2 shown]
	scratch_load_b64 v[28:29], off, off
	scratch_load_b64 v[22:23], off, off offset:40
	s_waitcnt vmcnt(4)
	v_add_f64 v[14:15], v[14:15], v[20:21]
	scratch_load_b64 v[20:21], off, off offset:112 ; 8-byte Folded Reload
	s_waitcnt vmcnt(3)
	v_fma_f64 v[35:36], v[134:135], s[22:23], -v[35:36]
	s_waitcnt vmcnt(0)
	v_add_f64 v[12:13], v[12:13], v[20:21]
	scratch_load_b64 v[20:21], off, off offset:120 ; 8-byte Folded Reload
	s_waitcnt vmcnt(0)
	v_add_f64 v[14:15], v[14:15], v[20:21]
	scratch_load_b64 v[20:21], off, off offset:192 ; 8-byte Folded Reload
	;; [unrolled: 3-line block ×21, first 2 shown]
	v_add_f64 v[12:13], v[12:13], v[174:175]
	s_delay_alu instid0(VALU_DEP_1) | instskip(SKIP_4) | instid1(VALU_DEP_1)
	v_add_f64 v[12:13], v[12:13], v[148:149]
	s_waitcnt vmcnt(0)
	v_add_f64 v[14:15], v[14:15], v[20:21]
	scratch_load_b64 v[20:21], off, off offset:16 ; 8-byte Folded Reload
	v_add_f64 v[14:15], v[14:15], v[151:152]
	v_add_f64 v[14:15], v[14:15], v[138:139]
	s_waitcnt vmcnt(0)
	v_add_f64 v[12:13], v[12:13], v[20:21]
	scratch_load_b64 v[20:21], off, off offset:24 ; 8-byte Folded Reload
	s_waitcnt vmcnt(0)
	v_add_f64 v[14:15], v[14:15], v[20:21]
	v_fma_f64 v[20:21], v[106:107], s[22:23], v[132:133]
	s_delay_alu instid0(VALU_DEP_1) | instskip(SKIP_1) | instid1(VALU_DEP_1)
	v_add_f64 v[20:21], v[20:21], v[22:23]
	v_fma_f64 v[22:23], v[110:111], s[22:23], -v[120:121]
	v_add_f64 v[22:23], v[22:23], v[24:25]
	v_fma_f64 v[24:25], v[118:119], s[14:15], v[112:113]
	s_delay_alu instid0(VALU_DEP_1) | instskip(SKIP_1) | instid1(VALU_DEP_1)
	v_add_f64 v[20:21], v[24:25], v[20:21]
	v_fma_f64 v[24:25], v[122:123], s[14:15], -v[156:157]
	;; [unrolled: 5-line block ×6, first 2 shown]
	v_add_f64 v[22:23], v[24:25], v[22:23]
	v_fma_f64 v[24:25], v[182:183], s[28:29], v[103:104]
	s_delay_alu instid0(VALU_DEP_2) | instskip(NEXT) | instid1(VALU_DEP_2)
	v_add_f64 v[39:40], v[26:27], v[22:23]
	v_add_f64 v[37:38], v[24:25], v[20:21]
	s_clause 0x3
	scratch_load_b64 v[20:21], off, off offset:48
	scratch_load_b64 v[24:25], off, off offset:96
	;; [unrolled: 1-line block ×4, first 2 shown]
	s_waitcnt vmcnt(3)
	v_fma_f64 v[20:21], v[106:107], s[26:27], v[20:21]
	s_waitcnt vmcnt(2)
	v_fma_f64 v[24:25], v[118:119], s[24:25], v[24:25]
	s_delay_alu instid0(VALU_DEP_2) | instskip(NEXT) | instid1(VALU_DEP_1)
	v_add_f64 v[20:21], v[20:21], v[28:29]
	v_add_f64 v[20:21], v[24:25], v[20:21]
	s_clause 0x1
	scratch_load_b64 v[24:25], off, off offset:208
	scratch_load_b64 v[28:29], off, off offset:8
	s_waitcnt vmcnt(3)
	v_fma_f64 v[22:23], v[110:111], s[26:27], -v[22:23]
	s_waitcnt vmcnt(2)
	v_fma_f64 v[26:27], v[122:123], s[24:25], -v[26:27]
	s_waitcnt vmcnt(1)
	v_fma_f64 v[24:25], v[142:143], s[20:21], v[24:25]
	s_waitcnt vmcnt(0)
	s_delay_alu instid0(VALU_DEP_3)
	v_add_f64 v[22:23], v[22:23], v[28:29]
	scratch_load_b64 v[28:29], off, off offset:144 ; 8-byte Folded Reload
	v_add_f64 v[22:23], v[26:27], v[22:23]
	scratch_load_b64 v[26:27], off, off offset:216 ; 8-byte Folded Reload
	v_add_f64 v[22:23], v[35:36], v[22:23]
	s_waitcnt vmcnt(1)
	v_fma_f64 v[28:29], v[130:131], s[22:23], v[28:29]
	s_delay_alu instid0(VALU_DEP_1)
	v_add_f64 v[20:21], v[28:29], v[20:21]
	scratch_load_b64 v[28:29], off, off offset:272 ; 8-byte Folded Reload
	s_waitcnt vmcnt(1)
	v_fma_f64 v[26:27], v[146:147], s[20:21], -v[26:27]
	s_waitcnt vmcnt(0)
	s_waitcnt_vscnt null, 0x0
	s_barrier
	buffer_gl0_inv
	ds_store_b128 v58, v[12:15]
	ds_store_b128 v58, v[202:205] offset:272
	ds_store_b128 v58, v[206:209] offset:544
	;; [unrolled: 1-line block ×7, first 2 shown]
	v_mul_u32_u24_e32 v12, 0x2493, v150
	ds_store_b128 v58, v[0:3] offset:2176
	ds_store_b128 v58, v[178:181] offset:2448
	;; [unrolled: 1-line block ×6, first 2 shown]
	v_lshrrev_b32_e32 v12, 16, v12
	s_delay_alu instid0(VALU_DEP_1) | instskip(SKIP_2) | instid1(VALU_DEP_2)
	v_mul_lo_u16 v13, v12, 7
	v_mul_lo_u32 v126, s64, v12
	s_mul_i32 s64, s64, 17
	v_sub_nc_u16 v13, v150, v13
	s_delay_alu instid0(VALU_DEP_2) | instskip(NEXT) | instid1(VALU_DEP_2)
	v_lshlrev_b64 v[6:7], 4, v[126:127]
	v_and_b32_e32 v14, 0xffff, v13
	v_mul_lo_u16 v2, 0x122, v13
	v_add_nc_u32_e32 v126, s64, v126
	s_delay_alu instid0(VALU_DEP_3) | instskip(NEXT) | instid1(VALU_DEP_3)
	v_mad_u64_u32 v[0:1], null, s16, v14, 0
	v_and_b32_e32 v4, 0xffff, v2
	v_add_f64 v[20:21], v[24:25], v[20:21]
	v_fma_f64 v[24:25], v[158:159], s[14:15], -v[160:161]
	v_add_f64 v[22:23], v[26:27], v[22:23]
	v_fma_f64 v[26:27], v[170:171], s[10:11], -v[172:173]
	v_mad_u64_u32 v[2:3], null, s17, v14, v[1:2]
	s_delay_alu instid0(VALU_DEP_1) | instskip(NEXT) | instid1(VALU_DEP_1)
	v_mov_b32_e32 v1, v2
	v_lshlrev_b64 v[0:1], 4, v[0:1]
	v_add_f64 v[22:23], v[24:25], v[22:23]
	v_fma_f64 v[24:25], v[166:167], s[10:11], v[168:169]
	s_delay_alu instid0(VALU_DEP_2) | instskip(SKIP_1) | instid1(VALU_DEP_1)
	v_add_f64 v[22:23], v[26:27], v[22:23]
	v_fma_f64 v[26:27], v[186:187], s[0:1], -v[136:137]
	v_add_f64 v[44:45], v[26:27], v[22:23]
	v_fma_f64 v[28:29], v[154:155], s[14:15], v[28:29]
	s_delay_alu instid0(VALU_DEP_1) | instskip(NEXT) | instid1(VALU_DEP_1)
	v_add_f64 v[20:21], v[28:29], v[20:21]
	v_add_f64 v[20:21], v[24:25], v[20:21]
	v_fma_f64 v[24:25], v[182:183], s[0:1], v[184:185]
	s_lshl_b64 s[0:1], s[6:7], 4
	s_delay_alu instid0(SALU_CYCLE_1) | instskip(SKIP_2) | instid1(SALU_CYCLE_1)
	s_add_u32 s2, s2, s0
	s_addc_u32 s3, s3, s1
	s_lshl_b64 s[0:1], s[12:13], 4
	s_add_u32 s2, s2, s0
	s_addc_u32 s3, s3, s1
	s_lshl_b64 s[0:1], s[8:9], 4
	s_delay_alu instid0(SALU_CYCLE_1) | instskip(SKIP_4) | instid1(VALU_DEP_2)
	s_add_u32 s0, s2, s0
	s_addc_u32 s1, s3, s1
	v_add_co_u32 v0, vcc_lo, s0, v0
	v_add_co_ci_u32_e32 v1, vcc_lo, s1, v1, vcc_lo
	s_mov_b32 s0, exec_lo
	v_add_co_u32 v6, vcc_lo, v0, v6
	s_delay_alu instid0(VALU_DEP_2)
	v_add_co_ci_u32_e32 v7, vcc_lo, v1, v7, vcc_lo
	v_add_f64 v[42:43], v[24:25], v[20:21]
	ds_store_b128 v58, v[8:11] offset:3808
	ds_store_b128 v58, v[37:40] offset:4080
	;; [unrolled: 1-line block ×3, first 2 shown]
	v_lshlrev_b32_e32 v10, 4, v4
	v_lshlrev_b32_e32 v11, 4, v12
	s_waitcnt lgkmcnt(0)
	s_barrier
	buffer_gl0_inv
	v_lshlrev_b64 v[8:9], 4, v[126:127]
	v_add3_u32 v2, 0, v10, v11
	v_add_nc_u32_e32 v126, s64, v126
	ds_load_b128 v[2:5], v2
	v_add_co_u32 v21, vcc_lo, v0, v8
	v_lshlrev_b64 v[19:20], 4, v[126:127]
	v_add_nc_u32_e32 v126, s64, v126
	v_add_co_ci_u32_e32 v22, vcc_lo, v1, v9, vcc_lo
	s_delay_alu instid0(VALU_DEP_2) | instskip(SKIP_3) | instid1(VALU_DEP_3)
	v_lshlrev_b64 v[23:24], 4, v[126:127]
	v_add_nc_u32_e32 v126, s64, v126
	v_add_co_u32 v19, vcc_lo, v0, v19
	v_add_co_ci_u32_e32 v20, vcc_lo, v1, v20, vcc_lo
	v_lshlrev_b64 v[25:26], 4, v[126:127]
	v_add_nc_u32_e32 v126, s64, v126
	v_add_co_u32 v23, vcc_lo, v0, v23
	v_add_co_ci_u32_e32 v24, vcc_lo, v1, v24, vcc_lo
	s_waitcnt lgkmcnt(0)
	global_store_b128 v[6:7], v[2:5], off
	v_add3_u32 v2, 0, v11, v10
	ds_load_b128 v[3:6], v2 offset:272
	ds_load_b128 v[7:10], v2 offset:544
	;; [unrolled: 1-line block ×4, first 2 shown]
	v_add_co_u32 v25, vcc_lo, v0, v25
	v_lshlrev_b64 v[27:28], 4, v[126:127]
	v_add_nc_u32_e32 v126, s64, v126
	v_add_co_ci_u32_e32 v26, vcc_lo, v1, v26, vcc_lo
	s_waitcnt lgkmcnt(3)
	global_store_b128 v[21:22], v[3:6], off
	s_waitcnt lgkmcnt(2)
	global_store_b128 v[19:20], v[7:10], off
	;; [unrolled: 2-line block ×4, first 2 shown]
	v_lshlrev_b64 v[19:20], 4, v[126:127]
	v_add_nc_u32_e32 v126, s64, v126
	ds_load_b128 v[3:6], v2 offset:1360
	ds_load_b128 v[7:10], v2 offset:1632
	ds_load_b128 v[11:14], v2 offset:1904
	ds_load_b128 v[15:18], v2 offset:2176
	v_add_co_u32 v21, vcc_lo, v0, v27
	v_lshlrev_b64 v[23:24], 4, v[126:127]
	v_add_nc_u32_e32 v126, s64, v126
	v_add_co_ci_u32_e32 v22, vcc_lo, v1, v28, vcc_lo
	v_add_co_u32 v19, vcc_lo, v0, v19
	s_delay_alu instid0(VALU_DEP_3)
	v_lshlrev_b64 v[25:26], 4, v[126:127]
	v_add_co_ci_u32_e32 v20, vcc_lo, v1, v20, vcc_lo
	v_add_co_u32 v23, vcc_lo, v0, v23
	v_add_co_ci_u32_e32 v24, vcc_lo, v1, v24, vcc_lo
	v_add_nc_u32_e32 v126, s64, v126
	v_add_co_u32 v25, vcc_lo, v0, v25
	v_add_co_ci_u32_e32 v26, vcc_lo, v1, v26, vcc_lo
	s_delay_alu instid0(VALU_DEP_3)
	v_lshlrev_b64 v[27:28], 4, v[126:127]
	v_add_nc_u32_e32 v126, s64, v126
	s_waitcnt lgkmcnt(3)
	global_store_b128 v[21:22], v[3:6], off
	s_waitcnt lgkmcnt(2)
	global_store_b128 v[19:20], v[7:10], off
	;; [unrolled: 2-line block ×4, first 2 shown]
	ds_load_b128 v[3:6], v2 offset:2448
	ds_load_b128 v[7:10], v2 offset:2720
	ds_load_b128 v[11:14], v2 offset:2992
	ds_load_b128 v[15:18], v2 offset:3264
	v_lshlrev_b64 v[19:20], 4, v[126:127]
	v_add_nc_u32_e32 v126, s64, v126
	v_add_co_u32 v21, vcc_lo, v0, v27
	v_add_co_ci_u32_e32 v22, vcc_lo, v1, v28, vcc_lo
	s_delay_alu instid0(VALU_DEP_3) | instskip(SKIP_3) | instid1(VALU_DEP_3)
	v_lshlrev_b64 v[23:24], 4, v[126:127]
	v_add_nc_u32_e32 v126, s64, v126
	v_add_co_u32 v19, vcc_lo, v0, v19
	v_add_co_ci_u32_e32 v20, vcc_lo, v1, v20, vcc_lo
	v_lshlrev_b64 v[25:26], 4, v[126:127]
	v_add_nc_u32_e32 v126, s64, v126
	v_add_co_u32 v23, vcc_lo, v0, v23
	v_add_co_ci_u32_e32 v24, vcc_lo, v1, v24, vcc_lo
	s_waitcnt lgkmcnt(3)
	global_store_b128 v[21:22], v[3:6], off
	v_lshlrev_b64 v[3:4], 4, v[126:127]
	v_add_co_u32 v25, vcc_lo, v0, v25
	v_add_co_ci_u32_e32 v26, vcc_lo, v1, v26, vcc_lo
	v_add_nc_u32_e32 v126, s64, v126
	s_waitcnt lgkmcnt(2)
	global_store_b128 v[19:20], v[7:10], off
	s_waitcnt lgkmcnt(1)
	global_store_b128 v[23:24], v[11:14], off
	;; [unrolled: 2-line block ×3, first 2 shown]
	v_add_co_u32 v19, vcc_lo, v0, v3
	v_add_co_ci_u32_e32 v20, vcc_lo, v1, v4, vcc_lo
	v_lshlrev_b64 v[21:22], 4, v[126:127]
	v_add_nc_u32_e32 v126, s64, v126
	ds_load_b128 v[3:6], v2 offset:3536
	ds_load_b128 v[7:10], v2 offset:3808
	;; [unrolled: 1-line block ×4, first 2 shown]
	v_lshlrev_b64 v[23:24], 4, v[126:127]
	v_add_nc_u32_e32 v126, s64, v126
	v_add_co_u32 v21, vcc_lo, v0, v21
	v_add_co_ci_u32_e32 v22, vcc_lo, v1, v22, vcc_lo
	s_delay_alu instid0(VALU_DEP_3) | instskip(SKIP_2) | instid1(VALU_DEP_3)
	v_lshlrev_b64 v[25:26], 4, v[126:127]
	v_add_co_u32 v23, vcc_lo, v0, v23
	v_add_co_ci_u32_e32 v24, vcc_lo, v1, v24, vcc_lo
	v_add_co_u32 v25, vcc_lo, v0, v25
	s_delay_alu instid0(VALU_DEP_4)
	v_add_co_ci_u32_e32 v26, vcc_lo, v1, v26, vcc_lo
	s_waitcnt lgkmcnt(3)
	global_store_b128 v[19:20], v[3:6], off
	s_waitcnt lgkmcnt(2)
	global_store_b128 v[21:22], v[7:10], off
	;; [unrolled: 2-line block ×4, first 2 shown]
	v_cmpx_gt_u32_e32 7, v150
	s_cbranch_execz .LBB0_2
; %bb.1:
	ds_load_b128 v[2:5], v2 offset:4624
	v_add_nc_u32_e32 v126, s64, v126
	s_delay_alu instid0(VALU_DEP_1) | instskip(NEXT) | instid1(VALU_DEP_1)
	v_lshlrev_b64 v[6:7], 4, v[126:127]
	v_add_co_u32 v0, vcc_lo, v0, v6
	s_delay_alu instid0(VALU_DEP_2)
	v_add_co_ci_u32_e32 v1, vcc_lo, v1, v7, vcc_lo
	s_waitcnt lgkmcnt(0)
	global_store_b128 v[0:1], v[2:5], off
.LBB0_2:
	s_nop 0
	s_sendmsg sendmsg(MSG_DEALLOC_VGPRS)
	s_endpgm
	.section	.rodata,"a",@progbits
	.p2align	6, 0x0
	.amdhsa_kernel fft_rtc_fwd_len289_factors_17_17_wgs_119_tpt_17_dp_op_CI_CI_sbrc_erc_z_xy_aligned_dirReg
		.amdhsa_group_segment_fixed_size 0
		.amdhsa_private_segment_fixed_size 436
		.amdhsa_kernarg_size 104
		.amdhsa_user_sgpr_count 15
		.amdhsa_user_sgpr_dispatch_ptr 0
		.amdhsa_user_sgpr_queue_ptr 0
		.amdhsa_user_sgpr_kernarg_segment_ptr 1
		.amdhsa_user_sgpr_dispatch_id 0
		.amdhsa_user_sgpr_private_segment_size 0
		.amdhsa_wavefront_size32 1
		.amdhsa_uses_dynamic_stack 0
		.amdhsa_enable_private_segment 1
		.amdhsa_system_sgpr_workgroup_id_x 1
		.amdhsa_system_sgpr_workgroup_id_y 0
		.amdhsa_system_sgpr_workgroup_id_z 0
		.amdhsa_system_sgpr_workgroup_info 0
		.amdhsa_system_vgpr_workitem_id 0
		.amdhsa_next_free_vgpr 256
		.amdhsa_next_free_sgpr 66
		.amdhsa_reserve_vcc 1
		.amdhsa_float_round_mode_32 0
		.amdhsa_float_round_mode_16_64 0
		.amdhsa_float_denorm_mode_32 3
		.amdhsa_float_denorm_mode_16_64 3
		.amdhsa_dx10_clamp 1
		.amdhsa_ieee_mode 1
		.amdhsa_fp16_overflow 0
		.amdhsa_workgroup_processor_mode 1
		.amdhsa_memory_ordered 1
		.amdhsa_forward_progress 0
		.amdhsa_shared_vgpr_count 0
		.amdhsa_exception_fp_ieee_invalid_op 0
		.amdhsa_exception_fp_denorm_src 0
		.amdhsa_exception_fp_ieee_div_zero 0
		.amdhsa_exception_fp_ieee_overflow 0
		.amdhsa_exception_fp_ieee_underflow 0
		.amdhsa_exception_fp_ieee_inexact 0
		.amdhsa_exception_int_div_zero 0
	.end_amdhsa_kernel
	.text
.Lfunc_end0:
	.size	fft_rtc_fwd_len289_factors_17_17_wgs_119_tpt_17_dp_op_CI_CI_sbrc_erc_z_xy_aligned_dirReg, .Lfunc_end0-fft_rtc_fwd_len289_factors_17_17_wgs_119_tpt_17_dp_op_CI_CI_sbrc_erc_z_xy_aligned_dirReg
                                        ; -- End function
	.section	.AMDGPU.csdata,"",@progbits
; Kernel info:
; codeLenInByte = 19868
; NumSgprs: 68
; NumVgprs: 256
; ScratchSize: 436
; MemoryBound: 0
; FloatMode: 240
; IeeeMode: 1
; LDSByteSize: 0 bytes/workgroup (compile time only)
; SGPRBlocks: 8
; VGPRBlocks: 31
; NumSGPRsForWavesPerEU: 68
; NumVGPRsForWavesPerEU: 256
; Occupancy: 5
; WaveLimiterHint : 1
; COMPUTE_PGM_RSRC2:SCRATCH_EN: 1
; COMPUTE_PGM_RSRC2:USER_SGPR: 15
; COMPUTE_PGM_RSRC2:TRAP_HANDLER: 0
; COMPUTE_PGM_RSRC2:TGID_X_EN: 1
; COMPUTE_PGM_RSRC2:TGID_Y_EN: 0
; COMPUTE_PGM_RSRC2:TGID_Z_EN: 0
; COMPUTE_PGM_RSRC2:TIDIG_COMP_CNT: 0
	.text
	.p2alignl 7, 3214868480
	.fill 96, 4, 3214868480
	.type	__hip_cuid_dbbc26d524523f95,@object ; @__hip_cuid_dbbc26d524523f95
	.section	.bss,"aw",@nobits
	.globl	__hip_cuid_dbbc26d524523f95
__hip_cuid_dbbc26d524523f95:
	.byte	0                               ; 0x0
	.size	__hip_cuid_dbbc26d524523f95, 1

	.ident	"AMD clang version 19.0.0git (https://github.com/RadeonOpenCompute/llvm-project roc-6.4.0 25133 c7fe45cf4b819c5991fe208aaa96edf142730f1d)"
	.section	".note.GNU-stack","",@progbits
	.addrsig
	.addrsig_sym __hip_cuid_dbbc26d524523f95
	.amdgpu_metadata
---
amdhsa.kernels:
  - .args:
      - .actual_access:  read_only
        .address_space:  global
        .offset:         0
        .size:           8
        .value_kind:     global_buffer
      - .offset:         8
        .size:           8
        .value_kind:     by_value
      - .actual_access:  read_only
        .address_space:  global
        .offset:         16
        .size:           8
        .value_kind:     global_buffer
      - .actual_access:  read_only
        .address_space:  global
        .offset:         24
        .size:           8
        .value_kind:     global_buffer
      - .actual_access:  read_only
        .address_space:  global
        .offset:         32
        .size:           8
        .value_kind:     global_buffer
      - .offset:         40
        .size:           8
        .value_kind:     by_value
      - .actual_access:  read_only
        .address_space:  global
        .offset:         48
        .size:           8
        .value_kind:     global_buffer
      - .actual_access:  read_only
        .address_space:  global
        .offset:         56
        .size:           8
        .value_kind:     global_buffer
      - .offset:         64
        .size:           4
        .value_kind:     by_value
      - .actual_access:  read_only
        .address_space:  global
        .offset:         72
        .size:           8
        .value_kind:     global_buffer
      - .actual_access:  read_only
        .address_space:  global
        .offset:         80
        .size:           8
        .value_kind:     global_buffer
      - .actual_access:  read_only
        .address_space:  global
        .offset:         88
        .size:           8
        .value_kind:     global_buffer
      - .actual_access:  write_only
        .address_space:  global
        .offset:         96
        .size:           8
        .value_kind:     global_buffer
    .group_segment_fixed_size: 0
    .kernarg_segment_align: 8
    .kernarg_segment_size: 104
    .language:       OpenCL C
    .language_version:
      - 2
      - 0
    .max_flat_workgroup_size: 119
    .name:           fft_rtc_fwd_len289_factors_17_17_wgs_119_tpt_17_dp_op_CI_CI_sbrc_erc_z_xy_aligned_dirReg
    .private_segment_fixed_size: 436
    .sgpr_count:     68
    .sgpr_spill_count: 0
    .symbol:         fft_rtc_fwd_len289_factors_17_17_wgs_119_tpt_17_dp_op_CI_CI_sbrc_erc_z_xy_aligned_dirReg.kd
    .uniform_work_group_size: 1
    .uses_dynamic_stack: false
    .vgpr_count:     256
    .vgpr_spill_count: 126
    .wavefront_size: 32
    .workgroup_processor_mode: 1
amdhsa.target:   amdgcn-amd-amdhsa--gfx1100
amdhsa.version:
  - 1
  - 2
...

	.end_amdgpu_metadata
